;; amdgpu-corpus repo=ROCm/rocFFT kind=compiled arch=gfx1030 opt=O3
	.text
	.amdgcn_target "amdgcn-amd-amdhsa--gfx1030"
	.amdhsa_code_object_version 6
	.protected	fft_rtc_fwd_len2401_factors_7_7_7_7_wgs_49_tpt_49_halfLds_sp_op_CI_CI_sbrr_dirReg ; -- Begin function fft_rtc_fwd_len2401_factors_7_7_7_7_wgs_49_tpt_49_halfLds_sp_op_CI_CI_sbrr_dirReg
	.globl	fft_rtc_fwd_len2401_factors_7_7_7_7_wgs_49_tpt_49_halfLds_sp_op_CI_CI_sbrr_dirReg
	.p2align	8
	.type	fft_rtc_fwd_len2401_factors_7_7_7_7_wgs_49_tpt_49_halfLds_sp_op_CI_CI_sbrr_dirReg,@function
fft_rtc_fwd_len2401_factors_7_7_7_7_wgs_49_tpt_49_halfLds_sp_op_CI_CI_sbrr_dirReg: ; @fft_rtc_fwd_len2401_factors_7_7_7_7_wgs_49_tpt_49_halfLds_sp_op_CI_CI_sbrr_dirReg
; %bb.0:
	s_clause 0x2
	s_load_dwordx4 s[16:19], s[4:5], 0x18
	s_load_dwordx4 s[12:15], s[4:5], 0x0
	;; [unrolled: 1-line block ×3, first 2 shown]
	v_mul_u32_u24_e32 v2, 0x53a, v0
	v_mov_b32_e32 v1, 0
	v_mov_b32_e32 v64, 0
	;; [unrolled: 1-line block ×3, first 2 shown]
	s_waitcnt lgkmcnt(0)
	s_load_dwordx2 s[20:21], s[16:17], 0x0
	s_load_dwordx2 s[2:3], s[18:19], 0x0
	v_cmp_lt_u64_e64 s0, s[14:15], 2
	v_add_nc_u32_sdwa v3, s6, v2 dst_sel:DWORD dst_unused:UNUSED_PAD src0_sel:DWORD src1_sel:WORD_1
	v_mov_b32_e32 v4, v1
	s_and_b32 vcc_lo, exec_lo, s0
	s_cbranch_vccnz .LBB0_8
; %bb.1:
	s_load_dwordx2 s[0:1], s[4:5], 0x10
	v_mov_b32_e32 v64, 0
	v_mov_b32_e32 v65, 0
	s_add_u32 s6, s18, 8
	s_addc_u32 s7, s19, 0
	v_mov_b32_e32 v60, v64
	s_add_u32 s22, s16, 8
	v_mov_b32_e32 v61, v65
	s_addc_u32 s23, s17, 0
	s_mov_b64 s[26:27], 1
	s_waitcnt lgkmcnt(0)
	s_add_u32 s24, s0, 8
	s_addc_u32 s25, s1, 0
.LBB0_2:                                ; =>This Inner Loop Header: Depth=1
	s_load_dwordx2 s[28:29], s[24:25], 0x0
                                        ; implicit-def: $vgpr8_vgpr9
	s_mov_b32 s0, exec_lo
	s_waitcnt lgkmcnt(0)
	v_or_b32_e32 v2, s29, v4
	v_cmpx_ne_u64_e32 0, v[1:2]
	s_xor_b32 s1, exec_lo, s0
	s_cbranch_execz .LBB0_4
; %bb.3:                                ;   in Loop: Header=BB0_2 Depth=1
	v_cvt_f32_u32_e32 v2, s28
	v_cvt_f32_u32_e32 v5, s29
	s_sub_u32 s0, 0, s28
	s_subb_u32 s30, 0, s29
	v_fmac_f32_e32 v2, 0x4f800000, v5
	v_rcp_f32_e32 v2, v2
	v_mul_f32_e32 v2, 0x5f7ffffc, v2
	v_mul_f32_e32 v5, 0x2f800000, v2
	v_trunc_f32_e32 v5, v5
	v_fmac_f32_e32 v2, 0xcf800000, v5
	v_cvt_u32_f32_e32 v5, v5
	v_cvt_u32_f32_e32 v2, v2
	v_mul_lo_u32 v6, s0, v5
	v_mul_hi_u32 v7, s0, v2
	v_mul_lo_u32 v8, s30, v2
	v_add_nc_u32_e32 v6, v7, v6
	v_mul_lo_u32 v7, s0, v2
	v_add_nc_u32_e32 v6, v6, v8
	v_mul_hi_u32 v8, v2, v7
	v_mul_lo_u32 v9, v2, v6
	v_mul_hi_u32 v10, v2, v6
	v_mul_hi_u32 v11, v5, v7
	v_mul_lo_u32 v7, v5, v7
	v_mul_hi_u32 v12, v5, v6
	v_mul_lo_u32 v6, v5, v6
	v_add_co_u32 v8, vcc_lo, v8, v9
	v_add_co_ci_u32_e32 v9, vcc_lo, 0, v10, vcc_lo
	v_add_co_u32 v7, vcc_lo, v8, v7
	v_add_co_ci_u32_e32 v7, vcc_lo, v9, v11, vcc_lo
	v_add_co_ci_u32_e32 v8, vcc_lo, 0, v12, vcc_lo
	v_add_co_u32 v6, vcc_lo, v7, v6
	v_add_co_ci_u32_e32 v7, vcc_lo, 0, v8, vcc_lo
	v_add_co_u32 v2, vcc_lo, v2, v6
	v_add_co_ci_u32_e32 v5, vcc_lo, v5, v7, vcc_lo
	v_mul_hi_u32 v6, s0, v2
	v_mul_lo_u32 v8, s30, v2
	v_mul_lo_u32 v7, s0, v5
	v_add_nc_u32_e32 v6, v6, v7
	v_mul_lo_u32 v7, s0, v2
	v_add_nc_u32_e32 v6, v6, v8
	v_mul_hi_u32 v8, v2, v7
	v_mul_lo_u32 v9, v2, v6
	v_mul_hi_u32 v10, v2, v6
	v_mul_hi_u32 v11, v5, v7
	v_mul_lo_u32 v7, v5, v7
	v_mul_hi_u32 v12, v5, v6
	v_mul_lo_u32 v6, v5, v6
	v_add_co_u32 v8, vcc_lo, v8, v9
	v_add_co_ci_u32_e32 v9, vcc_lo, 0, v10, vcc_lo
	v_add_co_u32 v7, vcc_lo, v8, v7
	v_add_co_ci_u32_e32 v7, vcc_lo, v9, v11, vcc_lo
	v_add_co_ci_u32_e32 v8, vcc_lo, 0, v12, vcc_lo
	v_add_co_u32 v6, vcc_lo, v7, v6
	v_add_co_ci_u32_e32 v7, vcc_lo, 0, v8, vcc_lo
	v_add_co_u32 v2, vcc_lo, v2, v6
	v_add_co_ci_u32_e32 v9, vcc_lo, v5, v7, vcc_lo
	v_mul_hi_u32 v11, v3, v2
	v_mad_u64_u32 v[7:8], null, v4, v2, 0
	v_mad_u64_u32 v[5:6], null, v3, v9, 0
	v_mad_u64_u32 v[9:10], null, v4, v9, 0
	v_add_co_u32 v2, vcc_lo, v11, v5
	v_add_co_ci_u32_e32 v5, vcc_lo, 0, v6, vcc_lo
	v_add_co_u32 v2, vcc_lo, v2, v7
	v_add_co_ci_u32_e32 v2, vcc_lo, v5, v8, vcc_lo
	v_add_co_ci_u32_e32 v5, vcc_lo, 0, v10, vcc_lo
	v_add_co_u32 v2, vcc_lo, v2, v9
	v_add_co_ci_u32_e32 v7, vcc_lo, 0, v5, vcc_lo
	v_mul_lo_u32 v8, s29, v2
	v_mad_u64_u32 v[5:6], null, s28, v2, 0
	v_mul_lo_u32 v9, s28, v7
	v_sub_co_u32 v5, vcc_lo, v3, v5
	v_add3_u32 v6, v6, v9, v8
	v_sub_nc_u32_e32 v8, v4, v6
	v_subrev_co_ci_u32_e64 v8, s0, s29, v8, vcc_lo
	v_add_co_u32 v9, s0, v2, 2
	v_add_co_ci_u32_e64 v10, s0, 0, v7, s0
	v_sub_co_u32 v11, s0, v5, s28
	v_sub_co_ci_u32_e32 v6, vcc_lo, v4, v6, vcc_lo
	v_subrev_co_ci_u32_e64 v8, s0, 0, v8, s0
	v_cmp_le_u32_e32 vcc_lo, s28, v11
	v_cmp_eq_u32_e64 s0, s29, v6
	v_cndmask_b32_e64 v11, 0, -1, vcc_lo
	v_cmp_le_u32_e32 vcc_lo, s29, v8
	v_cndmask_b32_e64 v12, 0, -1, vcc_lo
	v_cmp_le_u32_e32 vcc_lo, s28, v5
	;; [unrolled: 2-line block ×3, first 2 shown]
	v_cndmask_b32_e64 v13, 0, -1, vcc_lo
	v_cmp_eq_u32_e32 vcc_lo, s29, v8
	v_cndmask_b32_e64 v5, v13, v5, s0
	v_cndmask_b32_e32 v8, v12, v11, vcc_lo
	v_add_co_u32 v11, vcc_lo, v2, 1
	v_add_co_ci_u32_e32 v12, vcc_lo, 0, v7, vcc_lo
	v_cmp_ne_u32_e32 vcc_lo, 0, v8
	v_cndmask_b32_e32 v6, v12, v10, vcc_lo
	v_cndmask_b32_e32 v8, v11, v9, vcc_lo
	v_cmp_ne_u32_e32 vcc_lo, 0, v5
	v_cndmask_b32_e32 v9, v7, v6, vcc_lo
	v_cndmask_b32_e32 v8, v2, v8, vcc_lo
.LBB0_4:                                ;   in Loop: Header=BB0_2 Depth=1
	s_andn2_saveexec_b32 s0, s1
	s_cbranch_execz .LBB0_6
; %bb.5:                                ;   in Loop: Header=BB0_2 Depth=1
	v_cvt_f32_u32_e32 v2, s28
	s_sub_i32 s1, 0, s28
	v_mov_b32_e32 v9, v1
	v_rcp_iflag_f32_e32 v2, v2
	v_mul_f32_e32 v2, 0x4f7ffffe, v2
	v_cvt_u32_f32_e32 v2, v2
	v_mul_lo_u32 v5, s1, v2
	v_mul_hi_u32 v5, v2, v5
	v_add_nc_u32_e32 v2, v2, v5
	v_mul_hi_u32 v2, v3, v2
	v_mul_lo_u32 v5, v2, s28
	v_add_nc_u32_e32 v6, 1, v2
	v_sub_nc_u32_e32 v5, v3, v5
	v_subrev_nc_u32_e32 v7, s28, v5
	v_cmp_le_u32_e32 vcc_lo, s28, v5
	v_cndmask_b32_e32 v5, v5, v7, vcc_lo
	v_cndmask_b32_e32 v2, v2, v6, vcc_lo
	v_cmp_le_u32_e32 vcc_lo, s28, v5
	v_add_nc_u32_e32 v6, 1, v2
	v_cndmask_b32_e32 v8, v2, v6, vcc_lo
.LBB0_6:                                ;   in Loop: Header=BB0_2 Depth=1
	s_or_b32 exec_lo, exec_lo, s0
	v_mul_lo_u32 v2, v9, s28
	v_mul_lo_u32 v7, v8, s29
	s_load_dwordx2 s[0:1], s[22:23], 0x0
	v_mad_u64_u32 v[5:6], null, v8, s28, 0
	s_load_dwordx2 s[28:29], s[6:7], 0x0
	s_add_u32 s26, s26, 1
	s_addc_u32 s27, s27, 0
	s_add_u32 s6, s6, 8
	s_addc_u32 s7, s7, 0
	s_add_u32 s22, s22, 8
	v_add3_u32 v2, v6, v7, v2
	v_sub_co_u32 v3, vcc_lo, v3, v5
	s_addc_u32 s23, s23, 0
	s_add_u32 s24, s24, 8
	v_sub_co_ci_u32_e32 v2, vcc_lo, v4, v2, vcc_lo
	s_addc_u32 s25, s25, 0
	s_waitcnt lgkmcnt(0)
	v_mul_lo_u32 v4, s0, v2
	v_mul_lo_u32 v5, s1, v3
	v_mad_u64_u32 v[64:65], null, s0, v3, v[64:65]
	v_mul_lo_u32 v2, s28, v2
	v_mul_lo_u32 v6, s29, v3
	v_mad_u64_u32 v[60:61], null, s28, v3, v[60:61]
	v_cmp_ge_u64_e64 s0, s[26:27], s[14:15]
	v_add3_u32 v65, v5, v65, v4
	v_add3_u32 v61, v6, v61, v2
	s_and_b32 vcc_lo, exec_lo, s0
	s_cbranch_vccnz .LBB0_9
; %bb.7:                                ;   in Loop: Header=BB0_2 Depth=1
	v_mov_b32_e32 v3, v8
	v_mov_b32_e32 v4, v9
	s_branch .LBB0_2
.LBB0_8:
	v_mov_b32_e32 v60, v64
	v_mov_b32_e32 v9, v4
	;; [unrolled: 1-line block ×4, first 2 shown]
.LBB0_9:
	s_load_dwordx2 s[0:1], s[4:5], 0x28
	v_mul_hi_u32 v5, 0x539782a, v0
	s_lshl_b64 s[6:7], s[14:15], 3
                                        ; implicit-def: $sgpr14_sgpr15
                                        ; implicit-def: $vgpr118
                                        ; implicit-def: $vgpr119
                                        ; implicit-def: $vgpr120
                                        ; implicit-def: $vgpr112
                                        ; implicit-def: $vgpr113
                                        ; implicit-def: $vgpr115
                                        ; implicit-def: $vgpr114
	s_add_u32 s4, s18, s6
	s_addc_u32 s5, s19, s7
	s_waitcnt lgkmcnt(0)
	v_cmp_gt_u64_e32 vcc_lo, s[0:1], v[8:9]
	v_cmp_le_u64_e64 s0, s[0:1], v[8:9]
	s_and_saveexec_b32 s1, s0
	s_xor_b32 s0, exec_lo, s1
; %bb.10:
	v_mul_u32_u24_e32 v1, 49, v5
	s_mov_b64 s[14:15], 0
                                        ; implicit-def: $vgpr5
                                        ; implicit-def: $vgpr64_vgpr65
	v_sub_nc_u32_e32 v118, v0, v1
                                        ; implicit-def: $vgpr0
	v_add_nc_u32_e32 v119, 49, v118
	v_add_nc_u32_e32 v120, 0x62, v118
	v_add_nc_u32_e32 v112, 0x93, v118
	v_add_nc_u32_e32 v113, 0xc4, v118
	v_add_nc_u32_e32 v115, 0xf5, v118
	v_add_nc_u32_e32 v114, 0x126, v118
; %bb.11:
	s_or_saveexec_b32 s1, s0
	v_mov_b32_e32 v91, s15
	v_mov_b32_e32 v101, s15
	;; [unrolled: 1-line block ×56, first 2 shown]
                                        ; implicit-def: $vgpr19
                                        ; implicit-def: $vgpr15
                                        ; implicit-def: $vgpr6
                                        ; implicit-def: $vgpr31
                                        ; implicit-def: $vgpr29
                                        ; implicit-def: $vgpr21
                                        ; implicit-def: $vgpr46
                                        ; implicit-def: $vgpr44
                                        ; implicit-def: $vgpr33
                                        ; implicit-def: $vgpr71
                                        ; implicit-def: $vgpr69
                                        ; implicit-def: $vgpr57
                                        ; implicit-def: $vgpr83
                                        ; implicit-def: $vgpr81
                                        ; implicit-def: $vgpr73
                                        ; implicit-def: $vgpr95
                                        ; implicit-def: $vgpr93
                                        ; implicit-def: $vgpr85
                                        ; implicit-def: $vgpr107
                                        ; implicit-def: $vgpr105
                                        ; implicit-def: $vgpr103
	s_xor_b32 exec_lo, exec_lo, s1
	s_cbranch_execz .LBB0_13
; %bb.12:
	s_add_u32 s6, s16, s6
	s_addc_u32 s7, s17, s7
	v_mul_u32_u24_e32 v1, 49, v5
	s_load_dwordx2 s[6:7], s[6:7], 0x0
	v_lshlrev_b64 v[2:3], 3, v[64:65]
	v_sub_nc_u32_e32 v118, v0, v1
	v_add_nc_u32_e32 v15, 0x157, v118
	v_mad_u64_u32 v[0:1], null, s20, v118, 0
	v_add_nc_u32_e32 v18, 0x2ae, v118
	v_add_nc_u32_e32 v20, 0x405, v118
	v_mad_u64_u32 v[4:5], null, s20, v15, 0
	v_add_nc_u32_e32 v21, 0x55c, v118
	v_mad_u64_u32 v[6:7], null, s20, v18, 0
	v_mad_u64_u32 v[12:13], null, s21, v118, v[1:2]
	s_waitcnt lgkmcnt(0)
	v_mul_lo_u32 v16, s7, v8
	v_mul_lo_u32 v17, s6, v9
	v_mad_u64_u32 v[10:11], null, s6, v8, 0
	v_mov_b32_e32 v1, v5
	v_mad_u64_u32 v[13:14], null, s20, v20, 0
	v_mov_b32_e32 v5, v7
	v_add_nc_u32_e32 v119, 49, v118
	v_add_nc_u32_e32 v22, 0x188, v118
	v_add3_u32 v11, v11, v17, v16
	v_mad_u64_u32 v[15:16], null, s21, v15, v[1:2]
	v_mad_u64_u32 v[18:19], null, s21, v18, v[5:6]
	v_lshlrev_b64 v[10:11], 3, v[10:11]
	v_mov_b32_e32 v1, v12
	v_mov_b32_e32 v12, v14
	v_mad_u64_u32 v[16:17], null, s20, v21, 0
	v_mov_b32_e32 v5, v15
	v_add_co_u32 v10, s0, s8, v10
	v_add_co_ci_u32_e64 v11, s0, s9, v11, s0
	v_mov_b32_e32 v7, v18
	v_add_co_u32 v46, s0, v10, v2
	v_add_co_ci_u32_e64 v47, s0, v11, v3, s0
	v_lshlrev_b64 v[2:3], 3, v[4:5]
	v_mad_u64_u32 v[4:5], null, s21, v20, v[12:13]
	v_add_nc_u32_e32 v12, 0x6b3, v118
	v_lshlrev_b64 v[0:1], 3, v[0:1]
	v_lshlrev_b64 v[5:6], 3, v[6:7]
	v_mov_b32_e32 v7, v17
	v_add_nc_u32_e32 v20, 0x80a, v118
	v_mad_u64_u32 v[18:19], null, s20, v12, 0
	v_add_co_u32 v0, s0, v46, v0
	v_mad_u64_u32 v[10:11], null, s21, v21, v[7:8]
	v_add_co_ci_u32_e64 v1, s0, v47, v1, s0
	v_add_co_u32 v2, s0, v46, v2
	v_mov_b32_e32 v14, v4
	v_mov_b32_e32 v11, v19
	v_add_co_ci_u32_e64 v3, s0, v47, v3, s0
	v_add_co_u32 v4, s0, v46, v5
	v_add_co_ci_u32_e64 v5, s0, v47, v6, s0
	v_lshlrev_b64 v[6:7], 3, v[13:14]
	v_mov_b32_e32 v17, v10
	v_mad_u64_u32 v[14:15], null, s20, v20, 0
	v_mad_u64_u32 v[10:11], null, s21, v12, v[11:12]
	v_lshlrev_b64 v[11:12], 3, v[16:17]
	v_add_co_u32 v6, s0, v46, v6
	v_add_co_ci_u32_e64 v7, s0, v47, v7, s0
	v_mov_b32_e32 v13, v15
	v_mov_b32_e32 v19, v10
	v_add_co_u32 v10, s0, v46, v11
	v_mad_u64_u32 v[16:17], null, s20, v119, 0
	v_mad_u64_u32 v[20:21], null, s21, v20, v[13:14]
	v_add_co_ci_u32_e64 v11, s0, v47, v12, s0
	v_lshlrev_b64 v[12:13], 3, v[18:19]
	v_mad_u64_u32 v[18:19], null, s20, v22, 0
	v_add_nc_u32_e32 v24, 0x2df, v118
	v_mov_b32_e32 v15, v20
	v_add_nc_u32_e32 v26, 0x436, v118
	v_add_nc_u32_e32 v28, 0x58d, v118
	;; [unrolled: 1-line block ×4, first 2 shown]
	v_mad_u64_u32 v[20:21], null, s21, v119, v[17:18]
	v_add_nc_u32_e32 v120, 0x62, v118
	v_add_nc_u32_e32 v36, 0x1b9, v118
	;; [unrolled: 1-line block ×6, first 2 shown]
	v_mov_b32_e32 v17, v20
	v_mad_u64_u32 v[20:21], null, s20, v24, 0
	v_add_nc_u32_e32 v48, 0x86c, v118
	v_add_nc_u32_e32 v112, 0x93, v118
	;; [unrolled: 1-line block ×4, first 2 shown]
	v_lshlrev_b64 v[14:15], 3, v[14:15]
	v_add_co_u32 v12, s0, v46, v12
	v_mad_u64_u32 v[22:23], null, s21, v22, v[19:20]
	v_lshlrev_b64 v[16:17], 3, v[16:17]
	v_add_co_ci_u32_e64 v13, s0, v47, v13, s0
	v_add_co_u32 v14, s0, v46, v14
	v_add_co_ci_u32_e64 v15, s0, v47, v15, s0
	v_mov_b32_e32 v19, v22
	v_mad_u64_u32 v[22:23], null, s20, v26, 0
	v_add_co_u32 v16, s0, v46, v16
	v_lshlrev_b64 v[18:19], 3, v[18:19]
	v_add_nc_u32_e32 v56, 0x498, v118
	v_add_co_ci_u32_e64 v17, s0, v47, v17, s0
	v_mad_u64_u32 v[24:25], null, s21, v24, v[21:22]
	v_add_co_u32 v18, s0, v46, v18
	v_add_co_ci_u32_e64 v19, s0, v47, v19, s0
	v_add_nc_u32_e32 v58, 0x5ef, v118
	v_add_nc_u32_e32 v62, 0x746, v118
	v_mov_b32_e32 v21, v24
	v_mad_u64_u32 v[24:25], null, s20, v28, 0
	v_add_nc_u32_e32 v63, 0x89d, v118
	v_add_nc_u32_e32 v113, 0xc4, v118
	v_lshlrev_b64 v[20:21], 3, v[20:21]
	v_add_nc_u32_e32 v66, 0x777, v118
	v_add_nc_u32_e32 v67, 0x8ce, v118
	;; [unrolled: 1-line block ×3, first 2 shown]
	v_mad_u64_u32 v[26:27], null, s21, v26, v[23:24]
	v_add_co_u32 v20, s0, v46, v20
	v_add_co_ci_u32_e64 v21, s0, v47, v21, s0
	v_add_nc_u32_e32 v72, 0x24c, v118
	v_add_nc_u32_e32 v73, 0x3a3, v118
	v_mov_b32_e32 v23, v26
	v_mad_u64_u32 v[26:27], null, s20, v30, 0
	v_add_nc_u32_e32 v74, 0x4fa, v118
	v_add_nc_u32_e32 v114, 0x126, v118
	v_lshlrev_b64 v[22:23], 3, v[22:23]
	v_add_nc_u32_e32 v76, 0x930, v118
	v_mad_u64_u32 v[28:29], null, s21, v28, v[25:26]
	v_add_co_u32 v22, s0, v46, v22
	v_add_co_ci_u32_e64 v23, s0, v47, v23, s0
	v_mov_b32_e32 v25, v28
	v_mad_u64_u32 v[28:29], null, s20, v32, 0
	v_lshlrev_b64 v[24:25], 3, v[24:25]
	v_mad_u64_u32 v[30:31], null, s21, v30, v[27:28]
	v_add_co_u32 v24, s0, v46, v24
	v_add_co_ci_u32_e64 v25, s0, v47, v25, s0
	v_mov_b32_e32 v27, v30
	v_mad_u64_u32 v[30:31], null, s20, v120, 0
	v_lshlrev_b64 v[26:27], 3, v[26:27]
	;; [unrolled: 6-line block ×9, first 2 shown]
	v_mad_u64_u32 v[48:49], null, s21, v48, v[43:44]
	v_mad_u64_u32 v[50:51], null, s21, v112, v[45:46]
	v_add_co_u32 v40, s0, v46, v40
	v_add_co_ci_u32_e64 v41, s0, v47, v41, s0
	v_mov_b32_e32 v43, v48
	v_mad_u64_u32 v[48:49], null, s20, v52, 0
	v_mov_b32_e32 v45, v50
	v_mad_u64_u32 v[50:51], null, s20, v54, 0
	v_lshlrev_b64 v[42:43], 3, v[42:43]
	v_lshlrev_b64 v[44:45], 3, v[44:45]
	v_mad_u64_u32 v[52:53], null, s21, v52, v[49:50]
	v_add_co_u32 v42, s0, v46, v42
	v_add_co_ci_u32_e64 v43, s0, v47, v43, s0
	v_add_co_u32 v44, s0, v46, v44
	v_mov_b32_e32 v49, v52
	v_mad_u64_u32 v[52:53], null, s20, v56, 0
	v_add_co_ci_u32_e64 v45, s0, v47, v45, s0
	v_lshlrev_b64 v[48:49], 3, v[48:49]
	v_mad_u64_u32 v[54:55], null, s21, v54, v[51:52]
	v_add_co_u32 v48, s0, v46, v48
	v_add_co_ci_u32_e64 v49, s0, v47, v49, s0
	v_mov_b32_e32 v51, v54
	v_mad_u64_u32 v[54:55], null, s20, v58, 0
	v_lshlrev_b64 v[50:51], 3, v[50:51]
	v_mad_u64_u32 v[56:57], null, s21, v56, v[53:54]
	v_add_co_u32 v64, s0, v46, v50
	v_add_co_ci_u32_e64 v65, s0, v47, v51, s0
	v_mov_b32_e32 v53, v56
	v_mad_u64_u32 v[56:57], null, s20, v62, 0
	v_lshlrev_b64 v[50:51], 3, v[52:53]
	v_mad_u64_u32 v[58:59], null, s21, v58, v[55:56]
	v_mov_b32_e32 v52, v57
	v_add_co_u32 v68, s0, v46, v50
	v_add_co_ci_u32_e64 v69, s0, v47, v51, s0
	v_mad_u64_u32 v[52:53], null, s21, v62, v[52:53]
	v_mov_b32_e32 v55, v58
	v_mad_u64_u32 v[58:59], null, s20, v63, 0
	v_add_nc_u32_e32 v62, 0x21b, v118
	v_lshlrev_b64 v[50:51], 3, v[54:55]
	v_mad_u64_u32 v[54:55], null, s20, v113, 0
	v_mov_b32_e32 v57, v52
	v_mov_b32_e32 v53, v59
	v_add_co_u32 v70, s0, v46, v50
	v_add_co_ci_u32_e64 v71, s0, v47, v51, s0
	v_mad_u64_u32 v[52:53], null, s21, v63, v[53:54]
	v_lshlrev_b64 v[50:51], 3, v[56:57]
	v_mov_b32_e32 v53, v55
	v_mad_u64_u32 v[56:57], null, s20, v62, 0
	v_add_nc_u32_e32 v63, 0x372, v118
	v_mov_b32_e32 v59, v52
	v_mad_u64_u32 v[52:53], null, s21, v113, v[53:54]
	v_add_co_u32 v108, s0, v46, v50
	v_mov_b32_e32 v53, v57
	v_add_co_ci_u32_e64 v109, s0, v47, v51, s0
	v_lshlrev_b64 v[50:51], 3, v[58:59]
	v_mov_b32_e32 v55, v52
	v_mad_u64_u32 v[58:59], null, s20, v63, 0
	v_mad_u64_u32 v[52:53], null, s21, v62, v[53:54]
	v_add_nc_u32_e32 v62, 0x4c9, v118
	v_add_co_u32 v110, s0, v46, v50
	v_add_co_ci_u32_e64 v111, s0, v47, v51, s0
	v_lshlrev_b64 v[50:51], 3, v[54:55]
	v_mad_u64_u32 v[54:55], null, s20, v62, 0
	v_mov_b32_e32 v53, v59
	v_mov_b32_e32 v57, v52
	v_add_co_u32 v116, s0, v46, v50
	v_add_co_ci_u32_e64 v117, s0, v47, v51, s0
	v_mad_u64_u32 v[52:53], null, s21, v63, v[53:54]
	v_mov_b32_e32 v50, v55
	v_add_nc_u32_e32 v53, 0x620, v118
	v_lshlrev_b64 v[55:56], 3, v[56:57]
	v_mad_u64_u32 v[50:51], null, s21, v62, v[50:51]
	v_mov_b32_e32 v59, v52
	v_mad_u64_u32 v[51:52], null, s20, v53, 0
	v_add_co_u32 v121, s0, v46, v55
	v_add_co_ci_u32_e64 v122, s0, v47, v56, s0
	v_lshlrev_b64 v[56:57], 3, v[58:59]
	v_mad_u64_u32 v[58:59], null, s20, v66, 0
	v_mov_b32_e32 v55, v50
	v_mov_b32_e32 v50, v52
	v_mad_u64_u32 v[62:63], null, s20, v67, 0
	v_add_co_u32 v123, s0, v46, v56
	v_mad_u64_u32 v[52:53], null, s21, v53, v[50:51]
	v_mov_b32_e32 v50, v59
	v_add_co_ci_u32_e64 v124, s0, v47, v57, s0
	v_lshlrev_b64 v[53:54], 3, v[54:55]
	v_mov_b32_e32 v55, v63
	v_mad_u64_u32 v[56:57], null, s21, v66, v[50:51]
	v_lshlrev_b64 v[50:51], 3, v[51:52]
	v_add_co_u32 v125, s0, v46, v53
	v_add_co_ci_u32_e64 v126, s0, v47, v54, s0
	v_mov_b32_e32 v59, v56
	v_add_co_u32 v127, s0, v46, v50
	v_mad_u64_u32 v[66:67], null, s21, v67, v[55:56]
	v_add_co_ci_u32_e64 v128, s0, v47, v51, s0
	v_lshlrev_b64 v[50:51], 3, v[58:59]
	v_mad_u64_u32 v[52:53], null, s20, v115, 0
	v_mad_u64_u32 v[56:57], null, s20, v72, 0
	v_mov_b32_e32 v63, v66
	v_add_co_u32 v129, s0, v46, v50
	v_add_co_ci_u32_e64 v130, s0, v47, v51, s0
	v_mov_b32_e32 v50, v53
	v_mov_b32_e32 v51, v57
	v_mad_u64_u32 v[58:59], null, s20, v73, 0
	v_mad_u64_u32 v[66:67], null, s20, v74, 0
	v_lshlrev_b64 v[54:55], 3, v[62:63]
	v_mad_u64_u32 v[62:63], null, s21, v115, v[50:51]
	v_mad_u64_u32 v[50:51], null, s21, v72, v[51:52]
	v_mov_b32_e32 v51, v59
	v_add_co_u32 v131, s0, v46, v54
	v_mov_b32_e32 v54, v67
	v_mov_b32_e32 v53, v62
	v_mad_u64_u32 v[72:73], null, s21, v73, v[51:52]
	v_mov_b32_e32 v57, v50
	v_mad_u64_u32 v[50:51], null, s21, v74, v[54:55]
	v_lshlrev_b64 v[51:52], 3, v[52:53]
	v_add_nc_u32_e32 v62, 0x651, v118
	v_lshlrev_b64 v[53:54], 3, v[56:57]
	v_mov_b32_e32 v59, v72
	v_add_nc_u32_e32 v72, 0x7a8, v118
	v_add_co_ci_u32_e64 v132, s0, v47, v55, s0
	v_add_co_u32 v133, s0, v46, v51
	v_mov_b32_e32 v67, v50
	v_mad_u64_u32 v[55:56], null, s20, v62, 0
	v_add_co_ci_u32_e64 v134, s0, v47, v52, s0
	v_mad_u64_u32 v[51:52], null, s20, v72, 0
	v_add_co_u32 v135, s0, v46, v53
	v_add_co_ci_u32_e64 v136, s0, v47, v54, s0
	v_lshlrev_b64 v[53:54], 3, v[66:67]
	v_lshlrev_b64 v[57:58], 3, v[58:59]
	v_mov_b32_e32 v50, v56
	v_add_nc_u32_e32 v59, 0x8ff, v118
	v_mad_u64_u32 v[74:75], null, s20, v76, 0
	v_mad_u64_u32 v[66:67], null, s21, v72, v[52:53]
	;; [unrolled: 1-line block ×3, first 2 shown]
	v_add_co_u32 v137, s0, v46, v57
	v_add_co_ci_u32_e64 v138, s0, v47, v58, s0
	v_mad_u64_u32 v[57:58], null, s20, v59, 0
	v_mov_b32_e32 v52, v66
	v_mov_b32_e32 v56, v62
	v_mad_u64_u32 v[62:63], null, s20, v114, 0
	v_add_co_u32 v139, s0, v46, v53
	v_lshlrev_b64 v[51:52], 3, v[51:52]
	v_mov_b32_e32 v50, v58
	v_add_nc_u32_e32 v72, 0x27d, v118
	v_add_co_ci_u32_e64 v140, s0, v47, v54, s0
	v_lshlrev_b64 v[53:54], 3, v[55:56]
	v_mad_u64_u32 v[58:59], null, s21, v59, v[50:51]
	v_mad_u64_u32 v[66:67], null, s20, v72, 0
	v_mov_b32_e32 v55, v63
	v_add_co_u32 v141, s0, v46, v53
	v_add_co_ci_u32_e64 v142, s0, v47, v54, s0
	v_add_co_u32 v143, s0, v46, v51
	v_mad_u64_u32 v[55:56], null, s21, v114, v[55:56]
	v_add_co_ci_u32_e64 v144, s0, v47, v52, s0
	v_lshlrev_b64 v[51:52], 3, v[57:58]
	v_mov_b32_e32 v50, v67
	v_add_nc_u32_e32 v59, 0x3d4, v118
	v_mov_b32_e32 v63, v55
	v_mad_u64_u32 v[53:54], null, s21, v72, v[50:51]
	v_mad_u64_u32 v[54:55], null, s20, v59, 0
	v_add_co_u32 v145, s0, v46, v51
	v_add_co_ci_u32_e64 v146, s0, v47, v52, s0
	v_lshlrev_b64 v[50:51], 3, v[62:63]
	v_add_nc_u32_e32 v62, 0x52b, v118
	v_mov_b32_e32 v52, v55
	v_mov_b32_e32 v67, v53
	v_add_nc_u32_e32 v72, 0x682, v118
	v_mad_u64_u32 v[56:57], null, s20, v62, 0
	v_mad_u64_u32 v[52:53], null, s21, v59, v[52:53]
	v_add_co_u32 v147, s0, v46, v50
	v_mad_u64_u32 v[58:59], null, s20, v72, 0
	v_add_co_ci_u32_e64 v148, s0, v47, v51, s0
	v_mov_b32_e32 v55, v52
	v_lshlrev_b64 v[51:52], 3, v[66:67]
	v_mov_b32_e32 v50, v57
	v_mov_b32_e32 v53, v59
	v_mad_u64_u32 v[62:63], null, s21, v62, v[50:51]
	v_add_nc_u32_e32 v63, 0x7d9, v118
	v_mad_u64_u32 v[66:67], null, s21, v72, v[53:54]
	v_add_co_u32 v149, s0, v46, v51
	v_mad_u64_u32 v[72:73], null, s20, v63, 0
	v_mov_b32_e32 v57, v62
	v_add_co_ci_u32_e64 v150, s0, v47, v52, s0
	v_mov_b32_e32 v53, v75
	v_lshlrev_b64 v[50:51], 3, v[54:55]
	v_lshlrev_b64 v[54:55], 3, v[56:57]
	v_mov_b32_e32 v52, v73
	v_mov_b32_e32 v59, v66
	v_add_co_u32 v151, s0, v46, v50
	v_mad_u64_u32 v[56:57], null, s21, v63, v[52:53]
	v_mad_u64_u32 v[52:53], null, s21, v76, v[53:54]
	v_add_co_ci_u32_e64 v152, s0, v47, v51, s0
	v_lshlrev_b64 v[50:51], 3, v[58:59]
	v_add_co_u32 v153, s0, v46, v54
	v_mov_b32_e32 v73, v56
	v_mov_b32_e32 v75, v52
	v_add_co_ci_u32_e64 v154, s0, v47, v55, s0
	v_add_co_u32 v155, s0, v46, v50
	v_lshlrev_b64 v[52:53], 3, v[72:73]
	v_add_co_ci_u32_e64 v156, s0, v47, v51, s0
	v_lshlrev_b64 v[50:51], 3, v[74:75]
	v_add_co_u32 v157, s0, v46, v52
	v_add_co_ci_u32_e64 v158, s0, v47, v53, s0
	v_add_co_u32 v159, s0, v46, v50
	v_add_co_ci_u32_e64 v160, s0, v47, v51, s0
	s_clause 0x30
	global_load_dwordx2 v[96:97], v[0:1], off
	global_load_dwordx2 v[90:91], v[2:3], off
	;; [unrolled: 1-line block ×49, first 2 shown]
.LBB0_13:
	s_or_b32 exec_lo, exec_lo, s1
	s_waitcnt vmcnt(42)
	v_add_f32_e32 v7, v106, v90
	v_add_f32_e32 v65, v104, v100
	;; [unrolled: 1-line block ×3, first 2 shown]
	v_sub_f32_e32 v47, v90, v106
	v_sub_f32_e32 v36, v91, v107
	v_add_f32_e32 v64, v105, v101
	v_sub_f32_e32 v90, v100, v104
	v_sub_f32_e32 v100, v101, v105
	v_add_f32_e32 v101, v102, v98
	v_add_f32_e32 v104, v103, v99
	v_sub_f32_e32 v91, v98, v102
	v_sub_f32_e32 v99, v99, v103
	v_add_f32_e32 v102, v7, v65
	v_add_f32_e32 v103, v0, v64
	v_sub_f32_e32 v105, v65, v7
	v_sub_f32_e32 v106, v7, v101
	;; [unrolled: 1-line block ×4, first 2 shown]
	v_add_f32_e32 v7, v90, v91
	v_add_f32_e32 v65, v100, v99
	v_sub_f32_e32 v110, v99, v100
	v_add_f32_e32 v102, v102, v101
	v_sub_f32_e32 v100, v100, v36
	v_sub_f32_e32 v98, v0, v104
	;; [unrolled: 1-line block ×3, first 2 shown]
	v_add_f32_e32 v103, v103, v104
	v_add_f32_e32 v99, v47, v7
	;; [unrolled: 1-line block ×3, first 2 shown]
	v_mul_f32_e32 v96, 0x3f4a47b2, v106
	v_mul_f32_e32 v104, 0x3d64c772, v107
	;; [unrolled: 1-line block ×5, first 2 shown]
	v_sub_f32_e32 v109, v91, v90
	v_add_f32_e32 v36, v36, v65
	v_add_f32_e32 v65, v103, v97
	v_fmamk_f32 v102, v102, 0xbf955555, v7
	v_fmamk_f32 v106, v106, 0x3f4a47b2, v104
	v_fma_f32 v104, 0x3f3bfb3b, v105, -v104
	v_fma_f32 v105, 0xbf3bfb3b, v105, -v96
	v_fmamk_f32 v110, v111, 0x3eae86e6, v107
	v_fma_f32 v107, 0x3f5ff5aa, v100, -v107
	v_fma_f32 v108, 0xbeae86e6, v111, -v108
	v_mul_f32_e32 v97, 0xbf08b237, v109
	v_fmamk_f32 v103, v103, 0xbf955555, v65
	v_fmamk_f32 v109, v98, 0x3f4a47b2, v101
	v_add_f32_e32 v111, v106, v102
	v_add_f32_e32 v106, v104, v102
	;; [unrolled: 1-line block ×3, first 2 shown]
	v_fmac_f32_e32 v108, 0x3ee1c552, v36
	v_fmac_f32_e32 v107, 0x3ee1c552, v36
	;; [unrolled: 1-line block ×3, first 2 shown]
	v_add_f32_e32 v104, v109, v103
	s_waitcnt vmcnt(35)
	v_add_f32_e32 v109, v94, v88
	v_add_f32_e32 v100, v105, v108
	v_sub_f32_e32 v102, v106, v107
	v_add_f32_e32 v106, v106, v107
	v_sub_f32_e32 v107, v105, v108
	v_add_f32_e32 v105, v95, v89
	v_sub_f32_e32 v88, v88, v94
	v_sub_f32_e32 v94, v89, v95
	v_add_f32_e32 v95, v92, v86
	v_add_f32_e32 v36, v111, v110
	v_sub_f32_e32 v108, v111, v110
	v_add_f32_e32 v89, v93, v87
	v_sub_f32_e32 v86, v86, v92
	;; [unrolled: 2-line block ×3, first 2 shown]
	v_sub_f32_e32 v93, v79, v85
	v_add_f32_e32 v110, v109, v95
	v_sub_f32_e32 v111, v95, v109
	v_sub_f32_e32 v95, v92, v95
	;; [unrolled: 1-line block ×3, first 2 shown]
	v_add_f32_e32 v116, v87, v93
	v_add_f32_e32 v110, v110, v92
	v_sub_f32_e32 v117, v93, v87
	v_sub_f32_e32 v93, v94, v93
	v_sub_f32_e32 v87, v87, v94
	v_add_f32_e32 v94, v94, v116
	v_add_f32_e32 v92, v110, v54
	v_mul_f32_e32 v54, 0x3d64c772, v95
	v_mul_f32_e32 v116, 0xbf08b237, v117
	;; [unrolled: 1-line block ×4, first 2 shown]
	v_fmamk_f32 v110, v110, 0xbf955555, v92
	v_fmamk_f32 v109, v109, 0x3f4a47b2, v54
	v_fma_f32 v54, 0x3f3bfb3b, v111, -v54
	v_fma_f32 v87, 0x3f5ff5aa, v87, -v116
	;; [unrolled: 1-line block ×3, first 2 shown]
	v_fmamk_f32 v111, v93, 0x3eae86e6, v116
	v_fma_f32 v93, 0xbeae86e6, v93, -v117
	v_add_f32_e32 v54, v54, v110
	v_fmac_f32_e32 v87, 0x3ee1c552, v94
	v_add_f32_e32 v85, v85, v79
	v_sub_f32_e32 v79, v78, v84
	s_waitcnt vmcnt(28)
	v_add_f32_e32 v84, v82, v76
	v_add_f32_e32 v95, v95, v110
	v_sub_f32_e32 v117, v54, v87
	v_add_f32_e32 v121, v54, v87
	v_sub_f32_e32 v54, v76, v82
	v_add_f32_e32 v82, v80, v74
	v_fmac_f32_e32 v93, 0x3ee1c552, v94
	v_add_f32_e32 v78, v83, v77
	v_sub_f32_e32 v77, v77, v83
	v_add_f32_e32 v76, v81, v75
	v_sub_f32_e32 v74, v74, v80
	;; [unrolled: 2-line block ×3, first 2 shown]
	v_sub_f32_e32 v81, v67, v73
	v_add_f32_e32 v83, v84, v82
	v_add_f32_e32 v116, v95, v93
	v_sub_f32_e32 v122, v95, v93
	v_sub_f32_e32 v87, v82, v84
	;; [unrolled: 1-line block ×4, first 2 shown]
	v_add_f32_e32 v93, v75, v81
	v_add_f32_e32 v80, v83, v80
	v_sub_f32_e32 v83, v81, v75
	v_sub_f32_e32 v75, v75, v77
	v_fmac_f32_e32 v111, 0x3ee1c552, v94
	v_sub_f32_e32 v81, v77, v81
	v_add_f32_e32 v77, v77, v93
	v_mul_f32_e32 v82, 0x3d64c772, v82
	v_mul_f32_e32 v93, 0x3f4a47b2, v84
	;; [unrolled: 1-line block ×4, first 2 shown]
	v_add_f32_e32 v52, v80, v52
	v_fmamk_f32 v84, v84, 0x3f4a47b2, v82
	v_fma_f32 v82, 0x3f3bfb3b, v87, -v82
	v_fma_f32 v87, 0xbf3bfb3b, v87, -v93
	v_fmamk_f32 v93, v81, 0x3eae86e6, v83
	v_fma_f32 v83, 0x3f5ff5aa, v75, -v83
	v_fma_f32 v81, 0xbeae86e6, v81, -v94
	v_fmamk_f32 v80, v80, 0xbf955555, v52
	v_add_f32_e32 v75, v73, v67
	v_fmac_f32_e32 v93, 0x3ee1c552, v77
	v_fmac_f32_e32 v83, 0x3ee1c552, v77
	;; [unrolled: 1-line block ×3, first 2 shown]
	v_sub_f32_e32 v73, v66, v72
	s_waitcnt vmcnt(21)
	v_add_f32_e32 v77, v70, v62
	v_add_f32_e32 v72, v71, v63
	v_sub_f32_e32 v66, v62, v70
	v_sub_f32_e32 v62, v63, v71
	v_add_f32_e32 v63, v68, v58
	v_add_f32_e32 v84, v84, v80
	;; [unrolled: 1-line block ×5, first 2 shown]
	v_sub_f32_e32 v67, v58, v68
	v_add_f32_e32 v58, v56, v41
	v_sub_f32_e32 v59, v59, v69
	v_sub_f32_e32 v68, v42, v57
	v_add_f32_e32 v69, v77, v63
	v_add_f32_e32 v123, v80, v81
	v_sub_f32_e32 v126, v80, v81
	v_sub_f32_e32 v71, v63, v77
	;; [unrolled: 1-line block ×4, first 2 shown]
	v_add_f32_e32 v80, v59, v68
	v_add_f32_e32 v58, v69, v58
	v_sub_f32_e32 v69, v68, v59
	v_sub_f32_e32 v59, v59, v62
	;; [unrolled: 1-line block ×3, first 2 shown]
	v_add_f32_e32 v62, v62, v80
	v_add_f32_e32 v50, v58, v50
	v_mul_f32_e32 v63, 0x3d64c772, v63
	v_mul_f32_e32 v80, 0x3f4a47b2, v77
	;; [unrolled: 1-line block ×4, first 2 shown]
	v_sub_f32_e32 v124, v82, v83
	v_add_f32_e32 v125, v82, v83
	v_fmamk_f32 v58, v58, 0xbf955555, v50
	v_fmamk_f32 v77, v77, 0x3f4a47b2, v63
	v_fma_f32 v63, 0x3f3bfb3b, v71, -v63
	v_fma_f32 v71, 0xbf3bfb3b, v71, -v80
	v_fmamk_f32 v82, v68, 0x3eae86e6, v69
	v_fma_f32 v68, 0xbeae86e6, v68, -v81
	v_fma_f32 v59, 0x3f5ff5aa, v59, -v69
	v_add_f32_e32 v69, v77, v58
	v_add_f32_e32 v63, v63, v58
	;; [unrolled: 1-line block ×3, first 2 shown]
	v_fmac_f32_e32 v68, 0x3ee1c552, v62
	v_fmac_f32_e32 v82, 0x3ee1c552, v62
	;; [unrolled: 1-line block ×3, first 2 shown]
	v_add_f32_e32 v81, v57, v42
	s_waitcnt vmcnt(14)
	v_add_f32_e32 v62, v45, v39
	v_add_f32_e32 v42, v58, v68
	v_sub_f32_e32 v58, v58, v68
	v_add_f32_e32 v71, v46, v40
	v_sub_f32_e32 v68, v39, v45
	v_sub_f32_e32 v39, v40, v46
	v_add_f32_e32 v40, v43, v34
	v_sub_f32_e32 v80, v41, v56
	v_add_f32_e32 v41, v69, v82
	;; [unrolled: 2-line block ×5, first 2 shown]
	v_sub_f32_e32 v35, v35, v44
	v_sub_f32_e32 v43, v27, v33
	v_add_f32_e32 v44, v62, v40
	v_sub_f32_e32 v45, v40, v62
	v_sub_f32_e32 v46, v62, v34
	v_sub_f32_e32 v40, v34, v40
	v_add_f32_e32 v62, v35, v43
	v_add_f32_e32 v34, v44, v34
	v_sub_f32_e32 v44, v43, v35
	v_sub_f32_e32 v35, v35, v39
	;; [unrolled: 1-line block ×3, first 2 shown]
	v_add_f32_e32 v39, v39, v62
	v_mul_f32_e32 v40, 0x3d64c772, v40
	v_mul_f32_e32 v62, 0x3f4a47b2, v46
	;; [unrolled: 1-line block ×4, first 2 shown]
	v_add_f32_e32 v109, v109, v110
	v_fmamk_f32 v46, v46, 0x3f4a47b2, v40
	v_fma_f32 v40, 0x3f3bfb3b, v45, -v40
	v_fma_f32 v45, 0xbf3bfb3b, v45, -v62
	v_fmamk_f32 v62, v43, 0x3eae86e6, v44
	v_fma_f32 v35, 0x3f5ff5aa, v35, -v44
	v_fma_f32 v43, 0xbeae86e6, v43, -v63
	v_add_f32_e32 v110, v109, v111
	v_sub_f32_e32 v109, v109, v111
	v_add_f32_e32 v111, v84, v93
	v_sub_f32_e32 v127, v84, v93
	v_add_f32_e32 v48, v34, v48
	v_fmac_f32_e32 v62, 0x3ee1c552, v39
	v_fmac_f32_e32 v43, 0x3ee1c552, v39
	;; [unrolled: 1-line block ×3, first 2 shown]
	s_waitcnt vmcnt(7)
	v_add_f32_e32 v39, v30, v24
	v_add_f32_e32 v84, v31, v25
	v_sub_f32_e32 v82, v24, v30
	v_sub_f32_e32 v24, v25, v31
	v_add_f32_e32 v25, v28, v22
	v_fmamk_f32 v34, v34, 0xbf955555, v48
	v_add_f32_e32 v87, v29, v23
	v_sub_f32_e32 v83, v22, v28
	v_add_f32_e32 v22, v20, v16
	v_sub_f32_e32 v23, v23, v29
	v_sub_f32_e32 v28, v17, v21
	v_add_f32_e32 v29, v39, v25
	v_add_f32_e32 v40, v40, v34
	v_sub_f32_e32 v30, v25, v39
	v_sub_f32_e32 v31, v39, v22
	;; [unrolled: 1-line block ×3, first 2 shown]
	v_add_f32_e32 v39, v23, v28
	v_add_f32_e32 v22, v29, v22
	v_sub_f32_e32 v29, v28, v23
	v_sub_f32_e32 v23, v23, v24
	v_add_f32_e32 v94, v33, v27
	v_sub_f32_e32 v93, v26, v32
	v_sub_f32_e32 v32, v40, v35
	v_add_f32_e32 v33, v40, v35
	v_sub_f32_e32 v28, v24, v28
	v_add_f32_e32 v24, v24, v39
	v_mul_f32_e32 v25, 0x3d64c772, v25
	v_mul_f32_e32 v39, 0x3f4a47b2, v31
	;; [unrolled: 1-line block ×4, first 2 shown]
	s_waitcnt vmcnt(0)
	v_add_f32_e32 v139, v19, v13
	v_fmamk_f32 v31, v31, 0x3f4a47b2, v25
	v_fma_f32 v25, 0x3f3bfb3b, v30, -v25
	v_fma_f32 v30, 0xbf3bfb3b, v30, -v39
	v_fmamk_f32 v39, v28, 0x3eae86e6, v29
	v_fma_f32 v23, 0x3f5ff5aa, v23, -v29
	v_fma_f32 v28, 0xbeae86e6, v28, -v40
	v_sub_f32_e32 v95, v12, v18
	v_add_f32_e32 v37, v22, v37
	v_fmac_f32_e32 v39, 0x3ee1c552, v24
	v_fmac_f32_e32 v23, 0x3ee1c552, v24
	v_fmac_f32_e32 v28, 0x3ee1c552, v24
	v_add_f32_e32 v24, v18, v12
	v_sub_f32_e32 v12, v13, v19
	v_add_f32_e32 v13, v14, v10
	v_add_f32_e32 v140, v15, v11
	v_sub_f32_e32 v141, v10, v14
	v_add_f32_e32 v10, v5, v3
	v_sub_f32_e32 v11, v11, v15
	v_sub_f32_e32 v14, v4, v6
	v_add_f32_e32 v15, v24, v13
	v_fmamk_f32 v22, v22, 0xbf955555, v37
	v_sub_f32_e32 v18, v13, v24
	v_sub_f32_e32 v19, v24, v10
	;; [unrolled: 1-line block ×3, first 2 shown]
	v_add_f32_e32 v24, v11, v14
	v_add_f32_e32 v10, v15, v10
	v_sub_f32_e32 v15, v14, v11
	v_add_f32_e32 v25, v25, v22
	v_sub_f32_e32 v11, v11, v12
	v_sub_f32_e32 v14, v12, v14
	v_add_f32_e32 v12, v12, v24
	v_add_f32_e32 v24, v10, v1
	v_mul_f32_e32 v1, 0x3d64c772, v13
	v_mul_f32_e32 v13, 0x3f4a47b2, v19
	;; [unrolled: 1-line block ×3, first 2 shown]
	v_add_f32_e32 v137, v21, v17
	v_sub_f32_e32 v138, v16, v20
	v_sub_f32_e32 v20, v25, v23
	v_add_f32_e32 v21, v25, v23
	v_mul_f32_e32 v25, 0x3f5ff5aa, v11
	v_fmamk_f32 v10, v10, 0xbf955555, v24
	v_fmamk_f32 v19, v19, 0x3f4a47b2, v1
	v_fma_f32 v1, 0x3f3bfb3b, v18, -v1
	v_fma_f32 v13, 0xbf3bfb3b, v18, -v13
	v_fmamk_f32 v18, v14, 0x3eae86e6, v15
	v_fma_f32 v11, 0x3f5ff5aa, v11, -v15
	v_fma_f32 v14, 0xbeae86e6, v14, -v25
	v_add_f32_e32 v44, v46, v34
	v_add_f32_e32 v29, v31, v22
	;; [unrolled: 1-line block ×5, first 2 shown]
	v_fmac_f32_e32 v18, 0x3ee1c552, v12
	v_fmac_f32_e32 v11, 0x3ee1c552, v12
	v_mad_u32_u24 v144, v118, 28, 0
	v_add_f32_e32 v34, v45, v34
	v_add_f32_e32 v10, v13, v10
	v_fmac_f32_e32 v14, 0x3ee1c552, v12
	v_mad_i32_i24 v145, v119, 28, 0
	s_load_dwordx2 s[0:1], s[4:5], 0x0
	v_add_f32_e32 v26, v44, v62
	v_add_f32_e32 v17, v22, v28
	v_add_f32_e32 v142, v6, v4
	v_sub_f32_e32 v143, v3, v5
	v_add_f32_e32 v4, v15, v18
	v_sub_f32_e32 v6, v1, v11
	v_add_f32_e32 v11, v1, v11
	ds_write2_b32 v144, v7, v36 offset1:1
	ds_write2_b32 v144, v100, v102 offset0:2 offset1:3
	ds_write2_b32 v144, v106, v107 offset0:4 offset1:5
	ds_write_b32 v144, v108 offset:24
	ds_write2_b32 v145, v92, v110 offset1:1
	v_mad_i32_i24 v106, v120, 28, 0
	v_mad_i32_i24 v3, v112, 28, 0
	;; [unrolled: 1-line block ×5, first 2 shown]
	v_add_f32_e32 v27, v34, v43
	v_sub_f32_e32 v22, v22, v28
	v_add_f32_e32 v5, v10, v14
	v_sub_f32_e32 v34, v34, v43
	v_sub_f32_e32 v23, v29, v39
	;; [unrolled: 1-line block ×5, first 2 shown]
	v_add_f32_e32 v16, v29, v39
	ds_write2_b32 v145, v116, v117 offset0:2 offset1:3
	ds_write2_b32 v145, v121, v122 offset0:4 offset1:5
	ds_write_b32 v145, v109 offset:24
	ds_write2_b32 v106, v52, v111 offset1:1
	ds_write2_b32 v106, v123, v124 offset0:2 offset1:3
	ds_write2_b32 v106, v125, v126 offset0:4 offset1:5
	ds_write_b32 v106, v127 offset:24
	ds_write2_b32 v3, v50, v41 offset1:1
	ds_write2_b32 v3, v42, v56 offset0:2 offset1:3
	ds_write2_b32 v3, v57, v58 offset0:4 offset1:5
	ds_write_b32 v3, v59 offset:24
	ds_write2_b32 v92, v48, v26 offset1:1
	ds_write2_b32 v92, v27, v32 offset0:2 offset1:3
	ds_write2_b32 v92, v33, v34 offset0:4 offset1:5
	ds_write_b32 v92, v35 offset:24
	ds_write2_b32 v1, v37, v16 offset1:1
	ds_write2_b32 v1, v17, v20 offset0:2 offset1:3
	ds_write2_b32 v1, v21, v22 offset0:4 offset1:5
	ds_write_b32 v1, v23 offset:24
	ds_write2_b32 v134, v24, v4 offset1:1
	ds_write2_b32 v134, v5, v6 offset0:2 offset1:3
	ds_write2_b32 v134, v11, v10 offset0:4 offset1:5
	ds_write_b32 v134, v12 offset:24
	v_sub_f32_e32 v4, v90, v47
	v_sub_f32_e32 v91, v47, v91
	;; [unrolled: 1-line block ×3, first 2 shown]
	v_mul_f32_e32 v5, 0x3f4a47b2, v98
	v_lshl_add_u32 v121, v118, 2, 0
	v_mul_f32_e32 v64, 0x3f5ff5aa, v4
	v_fmamk_f32 v96, v91, 0x3eae86e6, v97
	v_fma_f32 v90, 0x3f3bfb3b, v0, -v101
	v_fma_f32 v0, 0xbf3bfb3b, v0, -v5
	v_add_nc_u32_e32 v122, 0x400, v121
	v_fma_f32 v64, 0xbeae86e6, v91, -v64
	v_fma_f32 v91, 0x3f5ff5aa, v4, -v97
	v_fmac_f32_e32 v96, 0x3ee1c552, v99
	v_add_f32_e32 v90, v90, v103
	v_add_f32_e32 v0, v0, v103
	v_fmac_f32_e32 v64, 0x3ee1c552, v99
	v_fmac_f32_e32 v91, 0x3ee1c552, v99
	v_add_nc_u32_e32 v116, 0x800, v121
	v_add_nc_u32_e32 v123, 0x1000, v121
	;; [unrolled: 1-line block ×7, first 2 shown]
	v_sub_f32_e32 v97, v104, v96
	v_add_nc_u32_e32 v126, 0x1400, v121
	v_add_nc_u32_e32 v102, 0x1e00, v121
	v_lshl_add_u32 v125, v119, 2, 0
	v_add_nc_u32_e32 v130, 0x1c00, v121
	v_sub_f32_e32 v98, v0, v64
	v_add_f32_e32 v99, v91, v90
	v_lshl_add_u32 v129, v120, 2, 0
	v_sub_f32_e32 v90, v90, v91
	v_add_f32_e32 v0, v64, v0
	v_lshl_add_u32 v131, v112, 2, 0
	v_lshl_add_u32 v132, v113, 2, 0
	s_waitcnt lgkmcnt(0)
	s_barrier
	buffer_gl0_inv
	ds_read2_b32 v[36:37], v122 offset0:87 offset1:136
	ds_read2_b32 v[28:29], v116 offset0:125 offset1:174
	;; [unrolled: 1-line block ×12, first 2 shown]
	v_add_nc_u32_e32 v136, 0x1600, v121
	v_lshl_add_u32 v133, v115, 2, 0
	v_mad_i32_i24 v52, 0xffffffe8, v114, v134
	ds_read_b32 v63, v121
	ds_read_b32 v62, v125
	;; [unrolled: 1-line block ×7, first 2 shown]
	ds_read2_b32 v[45:46], v135 offset0:65 offset1:114
	ds_read2_b32 v[30:31], v136 offset0:111 offset1:160
	;; [unrolled: 1-line block ×9, first 2 shown]
	s_waitcnt lgkmcnt(0)
	s_barrier
	buffer_gl0_inv
	v_add_f32_e32 v64, v96, v104
	ds_write2_b32 v144, v65, v97 offset1:1
	ds_write2_b32 v144, v98, v99 offset0:2 offset1:3
	ds_write2_b32 v144, v90, v0 offset0:4 offset1:5
	v_add_f32_e32 v0, v105, v89
	v_sub_f32_e32 v90, v79, v86
	v_sub_f32_e32 v65, v105, v85
	ds_write_b32 v144, v64 offset:24
	v_sub_f32_e32 v64, v89, v105
	v_sub_f32_e32 v89, v85, v89
	v_add_f32_e32 v0, v0, v85
	v_add_f32_e32 v85, v86, v79
	v_sub_f32_e32 v86, v86, v88
	v_mul_f32_e32 v90, 0xbf08b237, v90
	v_mul_f32_e32 v89, 0x3d64c772, v89
	v_add_f32_e32 v55, v0, v55
	v_sub_f32_e32 v79, v88, v79
	v_add_f32_e32 v85, v88, v85
	v_mul_f32_e32 v88, 0x3f4a47b2, v65
	v_fmamk_f32 v65, v65, 0x3f4a47b2, v89
	v_mul_f32_e32 v91, 0x3f5ff5aa, v86
	v_fma_f32 v89, 0x3f3bfb3b, v64, -v89
	v_fmamk_f32 v0, v0, 0xbf955555, v55
	v_fma_f32 v86, 0x3f5ff5aa, v86, -v90
	v_fma_f32 v64, 0xbf3bfb3b, v64, -v88
	v_fma_f32 v88, 0xbeae86e6, v79, -v91
	v_fmamk_f32 v79, v79, 0x3eae86e6, v90
	v_add_f32_e32 v89, v89, v0
	v_fmac_f32_e32 v86, 0x3ee1c552, v85
	v_add_f32_e32 v64, v64, v0
	v_fmac_f32_e32 v88, 0x3ee1c552, v85
	;; [unrolled: 2-line block ×3, first 2 shown]
	v_add_f32_e32 v65, v86, v89
	v_sub_f32_e32 v85, v89, v86
	v_add_f32_e32 v89, v78, v76
	v_sub_f32_e32 v86, v64, v88
	;; [unrolled: 2-line block ×4, first 2 shown]
	v_sub_f32_e32 v78, v78, v75
	v_sub_f32_e32 v76, v75, v76
	v_add_f32_e32 v75, v89, v75
	v_add_f32_e32 v89, v74, v73
	v_sub_f32_e32 v90, v73, v74
	v_sub_f32_e32 v74, v74, v54
	v_sub_f32_e32 v73, v54, v73
	v_mul_f32_e32 v76, 0x3d64c772, v76
	v_add_f32_e32 v54, v54, v89
	v_add_f32_e32 v53, v75, v53
	v_mul_f32_e32 v89, 0x3f4a47b2, v78
	v_mul_f32_e32 v90, 0xbf08b237, v90
	v_mul_f32_e32 v91, 0x3f5ff5aa, v74
	v_fmamk_f32 v78, v78, 0x3f4a47b2, v76
	v_fma_f32 v76, 0x3f3bfb3b, v79, -v76
	v_fmamk_f32 v75, v75, 0xbf955555, v53
	v_fma_f32 v74, 0x3f5ff5aa, v74, -v90
	v_fma_f32 v79, 0xbf3bfb3b, v79, -v89
	v_fma_f32 v89, 0xbeae86e6, v73, -v91
	v_fmamk_f32 v73, v73, 0x3eae86e6, v90
	v_add_f32_e32 v76, v76, v75
	v_fmac_f32_e32 v74, 0x3ee1c552, v54
	v_add_f32_e32 v79, v79, v75
	v_fmac_f32_e32 v89, 0x3ee1c552, v54
	v_add_f32_e32 v75, v78, v75
	v_fmac_f32_e32 v73, 0x3ee1c552, v54
	v_add_f32_e32 v54, v74, v76
	v_sub_f32_e32 v74, v76, v74
	v_sub_f32_e32 v76, v79, v89
	v_add_f32_e32 v78, v89, v79
	v_add_f32_e32 v89, v72, v70
	v_sub_f32_e32 v79, v75, v73
	v_add_f32_e32 v73, v73, v75
	v_sub_f32_e32 v75, v70, v72
	v_sub_f32_e32 v72, v72, v81
	v_sub_f32_e32 v70, v81, v70
	v_add_f32_e32 v81, v89, v81
	v_add_f32_e32 v89, v67, v80
	v_sub_f32_e32 v90, v80, v67
	v_sub_f32_e32 v67, v67, v66
	v_sub_f32_e32 v80, v66, v80
	v_mul_f32_e32 v70, 0x3d64c772, v70
	v_add_f32_e32 v66, v66, v89
	v_add_f32_e32 v51, v81, v51
	v_mul_f32_e32 v89, 0x3f4a47b2, v72
	v_mul_f32_e32 v90, 0xbf08b237, v90
	v_mul_f32_e32 v91, 0x3f5ff5aa, v67
	v_fmamk_f32 v72, v72, 0x3f4a47b2, v70
	v_fma_f32 v70, 0x3f3bfb3b, v75, -v70
	v_fmamk_f32 v81, v81, 0xbf955555, v51
	v_fma_f32 v67, 0x3f5ff5aa, v67, -v90
	v_fma_f32 v75, 0xbf3bfb3b, v75, -v89
	v_fma_f32 v89, 0xbeae86e6, v80, -v91
	v_fmamk_f32 v80, v80, 0x3eae86e6, v90
	v_add_f32_e32 v70, v70, v81
	v_fmac_f32_e32 v67, 0x3ee1c552, v66
	v_add_f32_e32 v75, v75, v81
	v_fmac_f32_e32 v89, 0x3ee1c552, v66
	v_add_f32_e32 v72, v72, v81
	v_fmac_f32_e32 v80, 0x3ee1c552, v66
	v_add_f32_e32 v66, v67, v70
	v_sub_f32_e32 v67, v70, v67
	v_sub_f32_e32 v70, v75, v89
	v_add_f32_e32 v75, v89, v75
	v_add_f32_e32 v89, v71, v77
	v_sub_f32_e32 v81, v72, v80
	v_add_f32_e32 v72, v80, v72
	v_sub_f32_e32 v80, v77, v71
	;; [unrolled: 34-line block ×3, first 2 shown]
	v_sub_f32_e32 v84, v84, v137
	v_sub_f32_e32 v87, v137, v87
	v_add_f32_e32 v90, v90, v137
	v_add_f32_e32 v93, v83, v138
	v_sub_f32_e32 v94, v138, v83
	v_sub_f32_e32 v83, v83, v82
	;; [unrolled: 1-line block ×3, first 2 shown]
	v_mul_f32_e32 v87, 0x3d64c772, v87
	v_add_f32_e32 v82, v82, v93
	v_add_f32_e32 v38, v90, v38
	v_mul_f32_e32 v93, 0x3f4a47b2, v84
	v_mul_f32_e32 v94, 0xbf08b237, v94
	;; [unrolled: 1-line block ×3, first 2 shown]
	v_fmamk_f32 v84, v84, 0x3f4a47b2, v87
	v_fma_f32 v87, 0x3f3bfb3b, v91, -v87
	v_fmamk_f32 v90, v90, 0xbf955555, v38
	v_fma_f32 v83, 0x3f5ff5aa, v83, -v94
	v_fma_f32 v91, 0xbf3bfb3b, v91, -v93
	;; [unrolled: 1-line block ×3, first 2 shown]
	v_fmamk_f32 v94, v96, 0x3eae86e6, v94
	v_add_f32_e32 v87, v87, v90
	v_fmac_f32_e32 v83, 0x3ee1c552, v82
	v_add_f32_e32 v91, v91, v90
	v_fmac_f32_e32 v93, 0x3ee1c552, v82
	;; [unrolled: 2-line block ×3, first 2 shown]
	v_add_f32_e32 v82, v83, v87
	v_sub_f32_e32 v83, v87, v83
	v_sub_f32_e32 v87, v91, v93
	v_add_f32_e32 v90, v93, v91
	v_add_f32_e32 v93, v139, v140
	v_sub_f32_e32 v97, v142, v140
	v_sub_f32_e32 v99, v143, v141
	;; [unrolled: 1-line block ×3, first 2 shown]
	v_add_f32_e32 v84, v94, v84
	v_add_f32_e32 v93, v93, v142
	v_sub_f32_e32 v94, v140, v139
	v_sub_f32_e32 v96, v139, v142
	v_add_f32_e32 v98, v141, v143
	v_sub_f32_e32 v103, v141, v95
	v_mul_f32_e32 v97, 0x3d64c772, v97
	v_add_f32_e32 v2, v93, v2
	v_mul_f32_e32 v99, 0xbf08b237, v99
	v_sub_f32_e32 v101, v95, v143
	v_add_f32_e32 v95, v95, v98
	v_mul_f32_e32 v98, 0x3f4a47b2, v96
	v_fmamk_f32 v96, v96, 0x3f4a47b2, v97
	v_fma_f32 v97, 0x3f3bfb3b, v94, -v97
	v_mul_f32_e32 v104, 0x3f5ff5aa, v103
	v_fmamk_f32 v93, v93, 0xbf955555, v2
	v_fma_f32 v103, 0x3f5ff5aa, v103, -v99
	v_fma_f32 v94, 0xbf3bfb3b, v94, -v98
	v_fmamk_f32 v98, v101, 0x3eae86e6, v99
	v_fma_f32 v99, 0xbeae86e6, v101, -v104
	v_add_f32_e32 v97, v97, v93
	v_fmac_f32_e32 v103, 0x3ee1c552, v95
	v_add_f32_e32 v96, v96, v93
	v_add_f32_e32 v93, v94, v93
	v_fmac_f32_e32 v99, 0x3ee1c552, v95
	v_fmac_f32_e32 v98, 0x3ee1c552, v95
	v_add_f32_e32 v94, v103, v97
	v_sub_f32_e32 v95, v97, v103
	v_and_b32_e32 v97, 0xff, v118
	ds_write2_b32 v145, v55, v88 offset1:1
	ds_write2_b32 v145, v86, v65 offset0:2 offset1:3
	ds_write2_b32 v145, v85, v64 offset0:4 offset1:5
	ds_write_b32 v145, v0 offset:24
	ds_write2_b32 v106, v53, v79 offset1:1
	ds_write2_b32 v106, v76, v54 offset0:2 offset1:3
	ds_write2_b32 v106, v74, v78 offset0:4 offset1:5
	ds_write_b32 v106, v73 offset:24
	ds_write2_b32 v3, v51, v81 offset1:1
	v_and_b32_e32 v51, 0xff, v119
	v_mul_lo_u16 v97, v97, 37
	ds_write2_b32 v3, v70, v66 offset0:2 offset1:3
	ds_write2_b32 v3, v67, v75 offset0:4 offset1:5
	ds_write_b32 v3, v72 offset:24
	ds_write2_b32 v92, v49, v89 offset1:1
	ds_write2_b32 v92, v77, v68 offset0:2 offset1:3
	v_mul_lo_u16 v3, v51, 37
	v_lshrrev_b16 v0, 8, v97
	ds_write2_b32 v92, v69, v80 offset0:4 offset1:5
	ds_write_b32 v92, v71 offset:24
	ds_write2_b32 v1, v38, v91 offset1:1
	v_and_b32_e32 v55, 0xff, v120
	v_lshrrev_b16 v3, 8, v3
	v_sub_nc_u16 v53, v118, v0
	ds_write2_b32 v1, v87, v82 offset0:2 offset1:3
	ds_write2_b32 v1, v83, v90 offset0:4 offset1:5
	ds_write_b32 v1, v84 offset:24
	v_sub_nc_u16 v38, v119, v3
	v_lshrrev_b16 v53, 1, v53
	v_mul_lo_u16 v1, v55, 37
	v_sub_f32_e32 v101, v93, v99
	v_add_f32_e32 v93, v99, v93
	v_sub_f32_e32 v99, v96, v98
	v_and_b32_e32 v49, 0x7f, v53
	v_lshrrev_b16 v1, 8, v1
	v_and_b32_e32 v53, 0xff, v112
	v_and_b32_e32 v54, 0xff, v113
	ds_write2_b32 v134, v2, v99 offset1:1
	v_add_nc_u16 v0, v49, v0
	v_mov_b32_e32 v72, 0x2493
	v_add_f32_e32 v96, v98, v96
	v_mul_lo_u16 v64, v54, 37
	ds_write2_b32 v134, v101, v94 offset0:2 offset1:3
	v_lshrrev_b16 v117, 2, v0
	v_lshrrev_b16 v0, 1, v38
	v_sub_nc_u16 v38, v120, v1
	ds_write2_b32 v134, v95, v93 offset0:4 offset1:5
	ds_write_b32 v134, v96 offset:24
	v_mul_lo_u16 v2, v117, 7
	v_and_b32_e32 v0, 0x7f, v0
	v_lshrrev_b16 v38, 1, v38
	s_waitcnt lgkmcnt(0)
	s_barrier
	v_sub_nc_u16 v150, v118, v2
	v_add_nc_u16 v0, v0, v3
	v_mul_lo_u16 v3, v53, 37
	v_mov_b32_e32 v2, 6
	buffer_gl0_inv
	v_lshrrev_b16 v107, 2, v0
	v_lshrrev_b16 v3, 8, v3
	v_mul_u32_u24_sdwa v49, v150, v2 dst_sel:DWORD dst_unused:UNUSED_PAD src0_sel:BYTE_0 src1_sel:DWORD
	v_and_b32_e32 v0, 0x7f, v38
	v_mul_lo_u16 v51, v107, 7
	v_sub_nc_u16 v38, v112, v3
	v_add_nc_u16 v0, v0, v1
	v_lshlrev_b32_e32 v1, 3, v49
	v_sub_nc_u16 v151, v119, v51
	v_lshrrev_b16 v38, 1, v38
	v_lshrrev_b16 v49, 8, v64
	;; [unrolled: 1-line block ×3, first 2 shown]
	global_load_dwordx4 v[64:67], v1, s[12:13]
	v_and_b32_e32 v0, 0x7f, v38
	v_mul_u32_u24_sdwa v38, v151, v2 dst_sel:DWORD dst_unused:UNUSED_PAD src0_sel:BYTE_0 src1_sel:DWORD
	v_sub_nc_u16 v68, v113, v49
	v_mul_lo_u16 v69, v51, 7
	v_add_nc_u16 v0, v0, v3
	v_lshlrev_b32_e32 v84, 3, v38
	v_lshrrev_b16 v3, 1, v68
	v_mul_u32_u24_sdwa v38, v115, v72 dst_sel:DWORD dst_unused:UNUSED_PAD src0_sel:WORD_0 src1_sel:DWORD
	v_sub_nc_u16 v108, v120, v69
	v_lshrrev_b16 v94, 2, v0
	global_load_dwordx4 v[68:71], v84, s[12:13]
	v_and_b32_e32 v0, 0x7f, v3
	v_lshrrev_b32_e32 v3, 16, v38
	v_mul_u32_u24_sdwa v38, v108, v2 dst_sel:DWORD dst_unused:UNUSED_PAD src0_sel:BYTE_0 src1_sel:DWORD
	v_mul_lo_u16 v73, v94, 7
	v_add_nc_u16 v0, v0, v49
	v_mul_u32_u24_sdwa v49, v114, v72 dst_sel:DWORD dst_unused:UNUSED_PAD src0_sel:WORD_0 src1_sel:DWORD
	v_sub_nc_u16 v72, v115, v3
	v_lshlrev_b32_e32 v85, 3, v38
	v_sub_nc_u16 v137, v112, v73
	v_lshrrev_b16 v106, 2, v0
	v_lshrrev_b32_e32 v0, 16, v49
	v_lshrrev_b16 v38, 1, v72
	global_load_dwordx4 v[72:75], v85, s[12:13]
	v_mul_u32_u24_sdwa v49, v137, v2 dst_sel:DWORD dst_unused:UNUSED_PAD src0_sel:BYTE_0 src1_sel:DWORD
	v_mul_lo_u16 v76, v106, 7
	v_sub_nc_u16 v77, v114, v0
	v_add_nc_u16 v3, v38, v3
	v_lshlrev_b32_e32 v86, 3, v49
	v_sub_nc_u16 v111, v113, v76
	v_lshrrev_b16 v38, 1, v77
	v_lshrrev_b16 v88, 2, v3
	global_load_dwordx4 v[76:79], v86, s[12:13]
	v_mul_u32_u24_sdwa v3, v111, v2 dst_sel:DWORD dst_unused:UNUSED_PAD src0_sel:BYTE_0 src1_sel:DWORD
	v_add_nc_u16 v0, v38, v0
	v_mul_lo_u16 v49, v88, 7
	v_lshlrev_b32_e32 v3, 3, v3
	v_lshrrev_b16 v38, 2, v0
	v_sub_nc_u16 v92, v115, v49
	global_load_dwordx4 v[80:83], v3, s[12:13]
	v_mul_lo_u16 v0, v38, 7
	v_mul_u32_u24_sdwa v87, v92, v2 dst_sel:DWORD dst_unused:UNUSED_PAD src0_sel:WORD_0 src1_sel:DWORD
	v_sub_nc_u16 v49, v114, v0
	v_lshlrev_b32_e32 v0, 3, v87
	v_mul_u32_u24_sdwa v2, v49, v2 dst_sel:DWORD dst_unused:UNUSED_PAD src0_sel:WORD_0 src1_sel:DWORD
	global_load_dwordx4 v[152:155], v0, s[12:13]
	v_lshlrev_b32_e32 v2, 3, v2
	s_clause 0xe
	global_load_dwordx4 v[156:159], v2, s[12:13]
	global_load_dwordx4 v[160:163], v1, s[12:13] offset:16
	global_load_dwordx4 v[167:170], v84, s[12:13] offset:16
	;; [unrolled: 1-line block ×14, first 2 shown]
	ds_read2_b32 v[84:85], v122 offset0:87 offset1:136
	ds_read2_b32 v[89:90], v116 offset0:125 offset1:174
	;; [unrolled: 1-line block ×3, first 2 shown]
	s_waitcnt vmcnt(20) lgkmcnt(2)
	v_mul_f32_e32 v91, v84, v65
	v_mul_f32_e32 v165, v36, v65
	s_waitcnt lgkmcnt(1)
	v_mul_f32_e32 v65, v90, v67
	v_mul_f32_e32 v166, v29, v67
	v_fma_f32 v36, v36, v64, -v91
	v_fmac_f32_e32 v165, v84, v64
	v_fma_f32 v29, v29, v66, -v65
	v_fmac_f32_e32 v166, v90, v66
	ds_read2_b32 v[64:65], v122 offset0:185 offset1:234
	s_waitcnt vmcnt(19)
	v_mul_f32_e32 v66, v85, v69
	v_mul_f32_e32 v146, v37, v69
	s_waitcnt lgkmcnt(1)
	v_mul_f32_e32 v69, v86, v71
	v_mul_f32_e32 v148, v41, v71
	v_fma_f32 v141, v37, v68, -v66
	ds_read2_b32 v[66:67], v135 offset0:65 offset1:114
	v_fma_f32 v143, v41, v70, -v69
	v_fmac_f32_e32 v148, v86, v70
	ds_read2_b32 v[69:70], v116 offset0:27 offset1:76
	v_fmac_f32_e32 v146, v85, v68
	s_waitcnt vmcnt(18)
	v_mul_f32_e32 v37, v87, v75
	v_mul_f32_e32 v98, v42, v75
	;; [unrolled: 1-line block ×3, first 2 shown]
	v_fma_f32 v96, v42, v74, -v37
	ds_read2_b32 v[41:42], v135 offset0:163 offset1:212
	s_waitcnt lgkmcnt(3)
	v_mul_f32_e32 v37, v64, v73
	v_fmac_f32_e32 v98, v87, v74
	v_fmac_f32_e32 v103, v64, v72
	s_waitcnt vmcnt(17)
	v_mul_f32_e32 v68, v65, v77
	v_fma_f32 v101, v39, v72, -v37
	v_mul_f32_e32 v85, v40, v77
	s_waitcnt lgkmcnt(2)
	v_mul_f32_e32 v37, v66, v79
	v_mul_f32_e32 v87, v45, v79
	v_fma_f32 v84, v40, v76, -v68
	v_fmac_f32_e32 v85, v65, v76
	v_fma_f32 v86, v45, v78, -v37
	v_fmac_f32_e32 v87, v66, v78
	s_waitcnt vmcnt(16)
	v_mul_f32_e32 v39, v67, v83
	v_mul_f32_e32 v77, v46, v83
	s_waitcnt lgkmcnt(1)
	v_mul_f32_e32 v37, v69, v81
	v_mul_f32_e32 v79, v43, v81
	v_fma_f32 v76, v46, v82, -v39
	ds_read2_b32 v[39:40], v123 offset0:5 offset1:54
	ds_read2_b32 v[45:46], v126 offset0:43 offset1:92
	v_fma_f32 v78, v43, v80, -v37
	v_fmac_f32_e32 v79, v69, v80
	v_fmac_f32_e32 v77, v67, v82
	s_waitcnt vmcnt(14)
	v_mul_f32_e32 v67, v48, v159
	v_mul_f32_e32 v37, v70, v153
	;; [unrolled: 1-line block ×3, first 2 shown]
	s_waitcnt lgkmcnt(2)
	v_mul_f32_e32 v43, v41, v155
	v_mul_f32_e32 v71, v47, v155
	;; [unrolled: 1-line block ×3, first 2 shown]
	v_fma_f32 v69, v44, v152, -v37
	v_fmac_f32_e32 v68, v70, v152
	v_fma_f32 v70, v47, v154, -v43
	ds_read2_b32 v[43:44], v126 offset0:141 offset1:190
	v_mul_f32_e32 v37, v89, v157
	v_fmac_f32_e32 v71, v41, v154
	v_mul_f32_e32 v41, v42, v159
	v_fmac_f32_e32 v67, v42, v158
	s_waitcnt vmcnt(12)
	v_mul_f32_e32 v157, v23, v168
	v_fma_f32 v65, v28, v156, -v37
	v_mul_f32_e32 v28, v22, v161
	v_fma_f32 v66, v48, v158, -v41
	s_waitcnt lgkmcnt(2)
	v_mul_f32_e32 v41, v39, v161
	ds_read2_b32 v[47:48], v123 offset0:103 offset1:152
	s_waitcnt lgkmcnt(2)
	v_mul_f32_e32 v42, v46, v163
	v_mul_f32_e32 v37, v19, v163
	v_fmac_f32_e32 v28, v39, v160
	v_fma_f32 v22, v22, v160, -v41
	v_mul_f32_e32 v39, v40, v168
	v_fma_f32 v19, v19, v162, -v42
	ds_read2_b32 v[41:42], v136 offset0:111 offset1:160
	v_fmac_f32_e32 v64, v89, v156
	v_fmac_f32_e32 v37, v46, v162
	v_fma_f32 v156, v23, v167, -v39
	v_fmac_f32_e32 v157, v40, v167
	s_waitcnt lgkmcnt(2)
	v_mul_f32_e32 v23, v43, v170
	s_waitcnt vmcnt(11)
	v_mul_f32_e32 v46, v44, v174
	ds_read2_b32 v[39:40], v123 offset0:201 offset1:250
	v_mul_f32_e32 v159, v24, v170
	v_mul_f32_e32 v144, v25, v174
	v_fma_f32 v158, v24, v169, -v23
	v_fma_f32 v145, v25, v173, -v46
	ds_read2_b32 v[24:25], v124 offset0:81 offset1:130
	s_waitcnt lgkmcnt(3)
	v_mul_f32_e32 v23, v47, v172
	v_fmac_f32_e32 v159, v43, v169
	v_mul_f32_e32 v149, v26, v172
	s_waitcnt vmcnt(10)
	v_mul_f32_e32 v43, v48, v176
	v_mul_f32_e32 v105, v27, v176
	v_fma_f32 v147, v26, v171, -v23
	v_mul_f32_e32 v110, v30, v178
	s_waitcnt lgkmcnt(2)
	v_mul_f32_e32 v23, v41, v178
	s_waitcnt vmcnt(9)
	v_mul_f32_e32 v26, v42, v182
	v_fma_f32 v104, v27, v175, -v43
	v_mul_f32_e32 v90, v31, v182
	v_mul_f32_e32 v93, v34, v180
	v_fma_f32 v109, v30, v177, -v23
	v_fma_f32 v89, v31, v181, -v26
	s_waitcnt lgkmcnt(1)
	v_mul_f32_e32 v23, v39, v180
	ds_read2_b32 v[26:27], v124 offset0:179 offset1:228
	ds_read2_b32 v[30:31], v102 offset0:89 offset1:138
	s_waitcnt vmcnt(8)
	v_mul_f32_e32 v83, v32, v186
	v_mul_f32_e32 v81, v35, v184
	v_fma_f32 v91, v34, v179, -v23
	v_mul_f32_e32 v23, v40, v184
	s_waitcnt lgkmcnt(2)
	v_mul_f32_e32 v34, v24, v186
	v_fmac_f32_e32 v83, v24, v185
	s_waitcnt vmcnt(7)
	v_mul_f32_e32 v24, v25, v190
	v_mul_f32_e32 v75, v33, v190
	v_fma_f32 v80, v35, v183, -v23
	v_fma_f32 v82, v32, v185, -v34
	ds_read2_b32 v[34:35], v128 offset0:59 offset1:108
	v_fma_f32 v74, v33, v189, -v24
	ds_read2_b32 v[32:33], v130 offset0:21 offset1:70
	v_mul_f32_e32 v23, v45, v188
	v_mul_f32_e32 v73, v18, v188
	v_fmac_f32_e32 v93, v39, v179
	v_fmac_f32_e32 v81, v40, v183
	s_waitcnt vmcnt(6)
	v_mul_f32_e32 v24, v12, v192
	v_fma_f32 v72, v18, v187, -v23
	s_waitcnt lgkmcnt(3)
	v_mul_f32_e32 v18, v26, v192
	s_waitcnt lgkmcnt(2)
	v_mul_f32_e32 v23, v31, v194
	s_waitcnt vmcnt(5)
	v_mul_f32_e32 v168, v13, v196
	ds_read2_b32 v[39:40], v128 offset0:157 offset1:206
	v_fmac_f32_e32 v75, v25, v189
	v_fma_f32 v18, v12, v191, -v18
	v_mul_f32_e32 v12, v27, v196
	v_mul_f32_e32 v25, v7, v194
	v_fmac_f32_e32 v24, v26, v191
	v_fma_f32 v23, v7, v193, -v23
	v_fmac_f32_e32 v168, v27, v195
	s_waitcnt lgkmcnt(2)
	v_mul_f32_e32 v7, v34, v198
	ds_read2_b32 v[26:27], v130 offset0:119 offset1:168
	v_fma_f32 v164, v13, v195, -v12
	s_waitcnt vmcnt(4)
	v_mul_f32_e32 v12, v35, v202
	v_mul_f32_e32 v163, v10, v200
	v_fma_f32 v167, v14, v197, -v7
	s_waitcnt lgkmcnt(2)
	v_mul_f32_e32 v7, v32, v200
	s_waitcnt vmcnt(3)
	v_mul_f32_e32 v153, v11, v204
	v_fma_f32 v162, v15, v201, -v12
	ds_read2_b32 v[12:13], v100 offset0:127 offset1:176
	s_waitcnt vmcnt(1)
	v_mul_f32_e32 v99, v4, v214
	v_fma_f32 v161, v10, v199, -v7
	v_mul_f32_e32 v7, v33, v204
	s_waitcnt lgkmcnt(2)
	v_mul_f32_e32 v10, v39, v206
	v_fmac_f32_e32 v25, v31, v193
	v_mul_f32_e32 v169, v14, v198
	v_mul_f32_e32 v160, v15, v202
	v_fma_f32 v152, v11, v203, -v7
	v_mul_f32_e32 v7, v40, v210
	v_fma_f32 v154, v16, v205, -v10
	s_waitcnt vmcnt(0)
	v_mul_f32_e32 v11, v30, v1
	s_waitcnt lgkmcnt(1)
	v_mul_f32_e32 v10, v26, v208
	v_sub_f32_e32 v14, v166, v24
	v_fma_f32 v139, v17, v209, -v7
	v_mul_f32_e32 v7, v27, v212
	v_sub_f32_e32 v15, v37, v28
	v_fma_f32 v138, v20, v207, -v10
	v_mul_f32_e32 v155, v16, v206
	v_mul_f32_e32 v140, v17, v210
	v_fma_f32 v95, v21, v211, -v7
	v_mul_f32_e32 v7, v6, v1
	s_waitcnt lgkmcnt(0)
	v_mul_f32_e32 v10, v12, v214
	v_fma_f32 v1, v6, v0, -v11
	v_mul_f32_e32 v6, v13, v3
	v_add_f32_e32 v11, v29, v18
	v_fmac_f32_e32 v7, v30, v0
	v_mul_f32_e32 v0, v5, v3
	v_fma_f32 v4, v4, v213, -v10
	v_add_f32_e32 v10, v36, v23
	v_fma_f32 v3, v5, v2, -v6
	v_mul_f32_e32 v142, v20, v208
	v_fmac_f32_e32 v0, v13, v2
	v_add_f32_e32 v2, v22, v19
	v_add_f32_e32 v5, v11, v10
	v_mul_f32_e32 v97, v21, v212
	v_fmac_f32_e32 v99, v12, v213
	v_mov_b32_e32 v12, 0xc4
	v_mov_b32_e32 v13, 2
	v_sub_f32_e32 v16, v10, v2
	v_sub_f32_e32 v17, v165, v25
	v_add_f32_e32 v5, v2, v5
	v_sub_f32_e32 v20, v15, v14
	v_fmac_f32_e32 v142, v26, v207
	v_fmac_f32_e32 v97, v27, v211
	v_mul_u32_u24_sdwa v6, v117, v12 dst_sel:DWORD dst_unused:UNUSED_PAD src0_sel:WORD_0 src1_sel:DWORD
	v_sub_f32_e32 v2, v2, v11
	v_add_f32_e32 v26, v15, v14
	v_mul_f32_e32 v16, 0x3f4a47b2, v16
	v_lshlrev_b32_sdwa v27, v13, v150 dst_sel:DWORD dst_unused:UNUSED_PAD src0_sel:DWORD src1_sel:BYTE_0
	v_sub_f32_e32 v14, v14, v17
	v_add_f32_e32 v21, v63, v5
	v_sub_f32_e32 v15, v17, v15
	v_mul_f32_e32 v20, 0xbf08b237, v20
	v_fmac_f32_e32 v149, v47, v171
	v_fmamk_f32 v30, v2, 0x3d64c772, v16
	v_sub_f32_e32 v10, v11, v10
	v_mul_f32_e32 v2, 0x3d64c772, v2
	v_add3_u32 v171, 0, v6, v27
	v_mul_f32_e32 v6, 0x3f5ff5aa, v14
	v_add_f32_e32 v26, v26, v17
	v_fmamk_f32 v5, v5, 0xbf955555, v21
	v_fmamk_f32 v31, v15, 0x3eae86e6, v20
	v_fma_f32 v17, 0x3f3bfb3b, v10, -v2
	v_fma_f32 v10, 0xbf3bfb3b, v10, -v16
	;; [unrolled: 1-line block ×4, first 2 shown]
	v_add_f32_e32 v11, v30, v5
	v_fmac_f32_e32 v31, 0x3ee1c552, v26
	v_add_f32_e32 v17, v17, v5
	v_add_f32_e32 v5, v10, v5
	v_fmac_f32_e32 v14, 0x3ee1c552, v26
	v_fmac_f32_e32 v15, 0x3ee1c552, v26
	v_add_f32_e32 v10, v31, v11
	ds_read_b32 v16, v121
	ds_read_b32 v172, v125
	;; [unrolled: 1-line block ×7, first 2 shown]
	s_waitcnt lgkmcnt(0)
	v_sub_f32_e32 v20, v17, v14
	v_add_f32_e32 v26, v15, v5
	s_barrier
	buffer_gl0_inv
	v_add_f32_e32 v14, v14, v17
	v_sub_f32_e32 v5, v5, v15
	ds_write2_b32 v171, v21, v10 offset1:7
	ds_write2_b32 v171, v26, v20 offset0:14 offset1:21
	v_add_f32_e32 v10, v141, v167
	v_add_f32_e32 v15, v143, v164
	v_fmac_f32_e32 v169, v34, v197
	ds_write2_b32 v171, v14, v5 offset0:28 offset1:35
	v_mul_u32_u24_sdwa v5, v107, v12 dst_sel:DWORD dst_unused:UNUSED_PAD src0_sel:WORD_0 src1_sel:DWORD
	v_lshlrev_b32_sdwa v14, v13, v151 dst_sel:DWORD dst_unused:UNUSED_PAD src0_sel:DWORD src1_sel:BYTE_0
	v_add_f32_e32 v17, v156, v158
	v_add_f32_e32 v20, v15, v10
	v_sub_f32_e32 v21, v148, v168
	v_sub_f32_e32 v26, v159, v157
	;; [unrolled: 1-line block ×3, first 2 shown]
	v_add3_u32 v5, 0, v5, v14
	v_add_f32_e32 v14, v17, v20
	v_sub_f32_e32 v20, v10, v17
	v_sub_f32_e32 v17, v17, v15
	;; [unrolled: 1-line block ×4, first 2 shown]
	v_add_f32_e32 v30, v26, v21
	v_sub_f32_e32 v21, v21, v27
	v_sub_f32_e32 v11, v11, v31
	;; [unrolled: 1-line block ×3, first 2 shown]
	v_mul_f32_e32 v20, 0x3f4a47b2, v20
	v_add_f32_e32 v31, v62, v14
	v_mul_f32_e32 v15, 0xbf08b237, v15
	v_fmac_f32_e32 v163, v32, v199
	v_add_f32_e32 v30, v30, v27
	v_mul_f32_e32 v27, 0x3d64c772, v17
	v_mul_f32_e32 v32, 0x3f5ff5aa, v21
	v_fmac_f32_e32 v153, v33, v203
	v_fmamk_f32 v17, v17, 0x3d64c772, v20
	v_fmamk_f32 v14, v14, 0xbf955555, v31
	;; [unrolled: 1-line block ×3, first 2 shown]
	v_fma_f32 v27, 0x3f3bfb3b, v10, -v27
	v_fma_f32 v10, 0xbf3bfb3b, v10, -v20
	;; [unrolled: 1-line block ×4, first 2 shown]
	v_add_f32_e32 v17, v17, v14
	v_fmac_f32_e32 v33, 0x3ee1c552, v30
	v_add_f32_e32 v10, v10, v14
	v_fmac_f32_e32 v20, 0x3ee1c552, v30
	;; [unrolled: 2-line block ×3, first 2 shown]
	v_fmac_f32_e32 v144, v44, v173
	v_fmac_f32_e32 v160, v35, v201
	v_add_f32_e32 v21, v33, v17
	v_add_f32_e32 v26, v101, v162
	;; [unrolled: 1-line block ×3, first 2 shown]
	ds_write_b32 v171, v11 offset:168
	v_add_f32_e32 v11, v20, v10
	v_sub_f32_e32 v30, v14, v15
	v_add_f32_e32 v14, v15, v14
	v_sub_f32_e32 v10, v10, v20
	v_add_f32_e32 v15, v147, v145
	v_add_f32_e32 v20, v27, v26
	ds_write2_b32 v5, v31, v21 offset1:7
	ds_write2_b32 v5, v11, v30 offset0:14 offset1:21
	ds_write2_b32 v5, v14, v10 offset0:28 offset1:35
	v_sub_f32_e32 v10, v17, v33
	v_sub_f32_e32 v14, v98, v163
	;; [unrolled: 1-line block ×4, first 2 shown]
	v_add_f32_e32 v11, v15, v20
	v_sub_f32_e32 v20, v26, v15
	v_sub_f32_e32 v15, v15, v27
	v_sub_f32_e32 v26, v27, v26
	v_add_f32_e32 v27, v17, v14
	v_sub_f32_e32 v30, v17, v14
	v_sub_f32_e32 v14, v14, v21
	v_mul_f32_e32 v20, 0x3f4a47b2, v20
	v_sub_f32_e32 v17, v21, v17
	v_add_f32_e32 v21, v27, v21
	v_mul_f32_e32 v27, 0x3d64c772, v15
	v_mul_f32_e32 v31, 0x3f5ff5aa, v14
	v_add_f32_e32 v32, v59, v11
	v_mul_f32_e32 v30, 0xbf08b237, v30
	v_fmamk_f32 v15, v15, 0x3d64c772, v20
	v_fma_f32 v27, 0x3f3bfb3b, v26, -v27
	v_fma_f32 v20, 0xbf3bfb3b, v26, -v20
	;; [unrolled: 1-line block ×3, first 2 shown]
	v_fmamk_f32 v11, v11, 0xbf955555, v32
	v_fmamk_f32 v17, v17, 0x3eae86e6, v30
	v_fma_f32 v14, 0x3f5ff5aa, v14, -v30
	v_mul_u32_u24_sdwa v30, v51, v12 dst_sel:DWORD dst_unused:UNUSED_PAD src0_sel:WORD_0 src1_sel:DWORD
	v_lshlrev_b32_sdwa v31, v13, v108 dst_sel:DWORD dst_unused:UNUSED_PAD src0_sel:DWORD src1_sel:BYTE_0
	v_add_f32_e32 v15, v15, v11
	v_fmac_f32_e32 v17, 0x3ee1c552, v21
	v_add_f32_e32 v27, v27, v11
	v_add_f32_e32 v11, v20, v11
	v_fmac_f32_e32 v26, 0x3ee1c552, v21
	v_fmac_f32_e32 v14, 0x3ee1c552, v21
	;; [unrolled: 1-line block ×4, first 2 shown]
	ds_write_b32 v5, v10 offset:168
	v_add3_u32 v107, 0, v30, v31
	v_add_f32_e32 v10, v17, v15
	v_add_f32_e32 v20, v26, v11
	v_sub_f32_e32 v21, v27, v14
	v_add_f32_e32 v14, v14, v27
	v_sub_f32_e32 v11, v11, v26
	v_add_f32_e32 v26, v84, v154
	v_add_f32_e32 v27, v86, v152
	v_fmac_f32_e32 v155, v39, v205
	ds_write2_b32 v107, v32, v10 offset1:7
	ds_write2_b32 v107, v20, v21 offset0:14 offset1:21
	ds_write2_b32 v107, v14, v11 offset0:28 offset1:35
	v_add_f32_e32 v10, v104, v109
	v_sub_f32_e32 v14, v15, v17
	v_add_f32_e32 v11, v27, v26
	v_sub_f32_e32 v17, v87, v153
	v_sub_f32_e32 v20, v110, v105
	;; [unrolled: 1-line block ×4, first 2 shown]
	v_add_f32_e32 v11, v10, v11
	v_sub_f32_e32 v10, v10, v27
	v_add_f32_e32 v31, v20, v17
	v_sub_f32_e32 v33, v20, v17
	v_mul_f32_e32 v21, 0x3f4a47b2, v21
	v_add_f32_e32 v32, v58, v11
	v_sub_f32_e32 v20, v30, v20
	v_add_f32_e32 v31, v31, v30
	v_sub_f32_e32 v26, v27, v26
	v_mul_f32_e32 v27, 0x3d64c772, v10
	v_sub_f32_e32 v17, v17, v30
	v_mul_f32_e32 v30, 0xbf08b237, v33
	v_fmamk_f32 v11, v11, 0xbf955555, v32
	v_fmamk_f32 v10, v10, 0x3d64c772, v21
	v_fma_f32 v27, 0x3f3bfb3b, v26, -v27
	v_mul_f32_e32 v33, 0x3f5ff5aa, v17
	v_fma_f32 v21, 0xbf3bfb3b, v26, -v21
	v_fmamk_f32 v26, v20, 0x3eae86e6, v30
	v_mul_u32_u24_sdwa v15, v94, v12 dst_sel:DWORD dst_unused:UNUSED_PAD src0_sel:WORD_0 src1_sel:DWORD
	v_lshlrev_b32_sdwa v34, v13, v137 dst_sel:DWORD dst_unused:UNUSED_PAD src0_sel:DWORD src1_sel:BYTE_0
	v_add_f32_e32 v10, v10, v11
	v_fma_f32 v20, 0xbeae86e6, v20, -v33
	v_fma_f32 v17, 0x3f5ff5aa, v17, -v30
	v_fmac_f32_e32 v26, 0x3ee1c552, v31
	v_add_f32_e32 v27, v27, v11
	v_add_f32_e32 v11, v21, v11
	v_fmac_f32_e32 v20, 0x3ee1c552, v31
	v_fmac_f32_e32 v17, 0x3ee1c552, v31
	ds_write_b32 v107, v14 offset:168
	v_add3_u32 v94, 0, v15, v34
	v_add_f32_e32 v14, v26, v10
	v_add_f32_e32 v15, v20, v11
	v_sub_f32_e32 v21, v27, v17
	v_sub_f32_e32 v11, v11, v20
	v_add_f32_e32 v20, v76, v138
	ds_write2_b32 v94, v32, v14 offset1:7
	v_add_f32_e32 v14, v78, v139
	v_add_f32_e32 v17, v17, v27
	v_fmac_f32_e32 v90, v42, v181
	ds_write2_b32 v94, v15, v21 offset0:14 offset1:21
	ds_write2_b32 v94, v17, v11 offset0:28 offset1:35
	v_add_f32_e32 v11, v91, v89
	v_add_f32_e32 v15, v20, v14
	v_fmac_f32_e32 v140, v40, v209
	v_sub_f32_e32 v10, v10, v26
	v_sub_f32_e32 v26, v77, v142
	;; [unrolled: 1-line block ×3, first 2 shown]
	v_add_f32_e32 v15, v11, v15
	v_sub_f32_e32 v30, v14, v11
	v_sub_f32_e32 v31, v79, v140
	;; [unrolled: 1-line block ×4, first 2 shown]
	v_add_f32_e32 v33, v57, v15
	v_mul_f32_e32 v30, 0x3f4a47b2, v30
	v_add_f32_e32 v34, v27, v26
	v_sub_f32_e32 v26, v26, v31
	v_sub_f32_e32 v27, v31, v27
	v_mul_f32_e32 v32, 0xbf08b237, v32
	v_fmamk_f32 v15, v15, 0xbf955555, v33
	v_fmamk_f32 v35, v11, 0x3d64c772, v30
	v_sub_f32_e32 v14, v20, v14
	v_mul_f32_e32 v11, 0x3d64c772, v11
	v_add_f32_e32 v20, v34, v31
	v_mul_f32_e32 v31, 0x3f5ff5aa, v26
	v_add_f32_e32 v34, v35, v15
	v_fmamk_f32 v35, v27, 0x3eae86e6, v32
	v_fma_f32 v11, 0x3f3bfb3b, v14, -v11
	v_fma_f32 v14, 0xbf3bfb3b, v14, -v30
	;; [unrolled: 1-line block ×4, first 2 shown]
	v_mul_u32_u24_sdwa v17, v106, v12 dst_sel:DWORD dst_unused:UNUSED_PAD src0_sel:WORD_0 src1_sel:DWORD
	v_lshlrev_b32_sdwa v21, v13, v111 dst_sel:DWORD dst_unused:UNUSED_PAD src0_sel:DWORD src1_sel:BYTE_0
	v_fmac_f32_e32 v35, 0x3ee1c552, v20
	v_add_f32_e32 v11, v11, v15
	v_add_f32_e32 v14, v14, v15
	v_fmac_f32_e32 v27, 0x3ee1c552, v20
	v_fmac_f32_e32 v26, 0x3ee1c552, v20
	ds_write_b32 v94, v10 offset:168
	v_add3_u32 v106, 0, v17, v21
	v_add_f32_e32 v10, v35, v34
	v_add_f32_e32 v20, v69, v4
	;; [unrolled: 1-line block ×4, first 2 shown]
	v_sub_f32_e32 v17, v11, v26
	v_add_f32_e32 v11, v26, v11
	v_sub_f32_e32 v14, v14, v27
	ds_write2_b32 v106, v33, v10 offset1:7
	ds_write2_b32 v106, v15, v17 offset0:14 offset1:21
	ds_write2_b32 v106, v11, v14 offset0:28 offset1:35
	v_add_f32_e32 v10, v80, v82
	v_add_f32_e32 v11, v21, v20
	v_sub_f32_e32 v17, v71, v97
	v_sub_f32_e32 v26, v83, v81
	;; [unrolled: 1-line block ×4, first 2 shown]
	v_add_f32_e32 v11, v10, v11
	v_sub_f32_e32 v10, v10, v21
	v_sub_f32_e32 v31, v26, v17
	v_add_f32_e32 v33, v26, v17
	v_mul_f32_e32 v27, 0x3f4a47b2, v27
	v_add_f32_e32 v32, v56, v11
	v_sub_f32_e32 v17, v17, v30
	v_sub_f32_e32 v26, v30, v26
	v_mul_f32_e32 v31, 0xbf08b237, v31
	v_fmamk_f32 v39, v10, 0x3d64c772, v27
	v_fmamk_f32 v11, v11, 0xbf955555, v32
	v_sub_f32_e32 v20, v21, v20
	v_mul_f32_e32 v10, 0x3d64c772, v10
	v_add_f32_e32 v21, v33, v30
	v_mul_f32_e32 v30, 0x3f5ff5aa, v17
	v_add_f32_e32 v33, v39, v11
	v_fmamk_f32 v39, v26, 0x3eae86e6, v31
	v_fma_f32 v10, 0x3f3bfb3b, v20, -v10
	v_fma_f32 v20, 0xbf3bfb3b, v20, -v27
	;; [unrolled: 1-line block ×4, first 2 shown]
	v_mul_u32_u24_sdwa v14, v88, v12 dst_sel:DWORD dst_unused:UNUSED_PAD src0_sel:WORD_0 src1_sel:DWORD
	v_lshlrev_b32_sdwa v15, v13, v92 dst_sel:DWORD dst_unused:UNUSED_PAD src0_sel:DWORD src1_sel:WORD_0
	v_fmac_f32_e32 v39, 0x3ee1c552, v21
	v_add_f32_e32 v10, v10, v11
	v_add_f32_e32 v11, v20, v11
	v_fmac_f32_e32 v26, 0x3ee1c552, v21
	v_fmac_f32_e32 v17, 0x3ee1c552, v21
	v_sub_f32_e32 v20, v34, v35
	v_add3_u32 v92, 0, v14, v15
	v_add_f32_e32 v14, v39, v33
	v_add_f32_e32 v15, v26, v11
	v_sub_f32_e32 v21, v10, v17
	v_add_f32_e32 v10, v17, v10
	v_sub_f32_e32 v11, v11, v26
	v_fmac_f32_e32 v73, v45, v187
	ds_write_b32 v106, v20 offset:168
	ds_write2_b32 v92, v32, v14 offset1:7
	ds_write2_b32 v92, v15, v21 offset0:14 offset1:21
	v_add_f32_e32 v14, v65, v3
	v_add_f32_e32 v15, v66, v1
	ds_write2_b32 v92, v10, v11 offset0:28 offset1:35
	v_sub_f32_e32 v10, v33, v39
	v_mul_u32_u24_sdwa v11, v38, v12 dst_sel:DWORD dst_unused:UNUSED_PAD src0_sel:WORD_0 src1_sel:DWORD
	v_add_f32_e32 v12, v72, v74
	v_add_f32_e32 v17, v15, v14
	v_sub_f32_e32 v20, v75, v73
	ds_write_b32 v92, v10 offset:168
	v_sub_f32_e32 v10, v67, v7
	v_sub_f32_e32 v21, v14, v12
	v_add_f32_e32 v17, v12, v17
	v_sub_f32_e32 v12, v12, v15
	v_sub_f32_e32 v26, v64, v0
	v_sub_f32_e32 v27, v20, v10
	v_mul_f32_e32 v21, 0x3f4a47b2, v21
	v_lshlrev_b32_sdwa v13, v13, v49 dst_sel:DWORD dst_unused:UNUSED_PAD src0_sel:DWORD src1_sel:WORD_0
	v_add_f32_e32 v30, v20, v10
	v_add_f32_e32 v31, v50, v17
	v_sub_f32_e32 v20, v26, v20
	v_mul_f32_e32 v27, 0xbf08b237, v27
	v_fmamk_f32 v32, v12, 0x3d64c772, v21
	v_sub_f32_e32 v10, v10, v26
	v_sub_f32_e32 v14, v15, v14
	v_mul_f32_e32 v12, 0x3d64c772, v12
	v_add_f32_e32 v30, v30, v26
	v_fmamk_f32 v17, v17, 0xbf955555, v31
	v_fmamk_f32 v26, v20, 0x3eae86e6, v27
	v_add3_u32 v108, 0, v11, v13
	v_mul_f32_e32 v11, 0x3f5ff5aa, v10
	v_fma_f32 v12, 0x3f3bfb3b, v14, -v12
	v_fma_f32 v10, 0x3f5ff5aa, v10, -v27
	v_add_f32_e32 v13, v32, v17
	v_fmac_f32_e32 v26, 0x3ee1c552, v30
	v_fma_f32 v14, 0xbf3bfb3b, v14, -v21
	v_fma_f32 v11, 0xbeae86e6, v20, -v11
	v_add_f32_e32 v12, v12, v17
	v_fmac_f32_e32 v10, 0x3ee1c552, v30
	v_add_f32_e32 v111, v165, v25
	v_add_f32_e32 v137, v166, v24
	;; [unrolled: 1-line block ×4, first 2 shown]
	v_fmac_f32_e32 v11, 0x3ee1c552, v30
	v_sub_f32_e32 v17, v12, v10
	v_add_f32_e32 v20, v28, v37
	v_add_f32_e32 v21, v137, v111
	;; [unrolled: 1-line block ×3, first 2 shown]
	v_sub_f32_e32 v151, v29, v18
	v_sub_f32_e32 v12, v19, v22
	ds_write2_b32 v108, v31, v15 offset1:7
	v_add_f32_e32 v15, v11, v14
	v_sub_f32_e32 v11, v14, v11
	v_add_f32_e32 v14, v20, v21
	v_sub_f32_e32 v165, v36, v23
	v_sub_f32_e32 v166, v20, v137
	;; [unrolled: 1-line block ×4, first 2 shown]
	v_add_f32_e32 v173, v16, v14
	v_add_f32_e32 v16, v12, v151
	v_sub_f32_e32 v151, v151, v165
	v_mul_f32_e32 v176, 0xbf08b237, v19
	v_sub_f32_e32 v111, v137, v111
	v_mul_f32_e32 v137, 0x3d64c772, v166
	v_sub_f32_e32 v175, v165, v12
	v_add_f32_e32 v177, v16, v165
	v_fmamk_f32 v178, v14, 0xbf955555, v173
	v_mul_f32_e32 v165, 0x3f5ff5aa, v151
	v_fma_f32 v137, 0x3f3bfb3b, v111, -v137
	v_fma_f32 v151, 0x3f5ff5aa, v151, -v176
	v_add_f32_e32 v146, v146, v169
	v_add_f32_e32 v148, v148, v168
	;; [unrolled: 1-line block ×4, first 2 shown]
	v_fmac_f32_e32 v151, 0x3ee1c552, v177
	v_sub_f32_e32 v143, v143, v164
	v_add_f32_e32 v159, v148, v146
	v_sub_f32_e32 v141, v141, v167
	v_mul_f32_e32 v174, 0x3f4a47b2, v18
	v_add_f32_e32 v168, v151, v137
	v_sub_f32_e32 v137, v137, v151
	v_sub_f32_e32 v151, v158, v156
	v_add_f32_e32 v156, v157, v159
	v_sub_f32_e32 v158, v146, v157
	v_sub_f32_e32 v157, v157, v148
	;; [unrolled: 1-line block ×4, first 2 shown]
	v_add_f32_e32 v164, v172, v156
	v_mul_f32_e32 v158, 0x3f4a47b2, v158
	v_add_f32_e32 v167, v151, v143
	v_sub_f32_e32 v143, v143, v141
	v_fmamk_f32 v13, v166, 0x3d64c772, v174
	v_fmamk_f32 v179, v175, 0x3eae86e6, v176
	v_sub_f32_e32 v151, v141, v151
	v_mul_f32_e32 v159, 0xbf08b237, v159
	v_fmamk_f32 v156, v156, 0xbf955555, v164
	v_fmamk_f32 v169, v157, 0x3d64c772, v158
	v_sub_f32_e32 v146, v148, v146
	v_mul_f32_e32 v148, 0x3d64c772, v157
	v_mul_f32_e32 v157, 0x3f5ff5aa, v143
	v_add_f32_e32 v180, v13, v178
	v_fmac_f32_e32 v179, 0x3ee1c552, v177
	v_fma_f32 v111, 0xbf3bfb3b, v111, -v174
	v_fma_f32 v165, 0xbeae86e6, v175, -v165
	v_add_f32_e32 v141, v167, v141
	v_add_f32_e32 v167, v169, v156
	v_fmamk_f32 v169, v151, 0x3eae86e6, v159
	v_fma_f32 v148, 0x3f3bfb3b, v146, -v148
	v_fma_f32 v146, 0xbf3bfb3b, v146, -v158
	;; [unrolled: 1-line block ×4, first 2 shown]
	v_sub_f32_e32 v166, v180, v179
	v_add_f32_e32 v111, v111, v178
	v_fmac_f32_e32 v165, 0x3ee1c552, v177
	v_fmac_f32_e32 v169, 0x3ee1c552, v141
	v_add_f32_e32 v148, v148, v156
	v_add_f32_e32 v146, v146, v156
	v_fmac_f32_e32 v151, 0x3ee1c552, v141
	v_fmac_f32_e32 v143, 0x3ee1c552, v141
	ds_write2_b32 v108, v15, v17 offset0:14 offset1:21
	ds_write2_b32 v108, v10, v11 offset0:28 offset1:35
	ds_write_b32 v108, v12 offset:168
	s_waitcnt lgkmcnt(0)
	s_barrier
	buffer_gl0_inv
	ds_read_b32 v88, v121
	ds_read_b32 v63, v125
	ds_read_b32 v62, v129
	ds_read_b32 v59, v131
	ds_read_b32 v58, v132
	ds_read_b32 v57, v133
	ds_read_b32 v56, v52
	ds_read2_b32 v[50:51], v122 offset0:87 offset1:136
	ds_read2_b32 v[30:31], v116 offset0:125 offset1:174
	;; [unrolled: 1-line block ×21, first 2 shown]
	s_waitcnt lgkmcnt(0)
	s_barrier
	buffer_gl0_inv
	ds_write2_b32 v171, v173, v166 offset1:7
	v_sub_f32_e32 v166, v111, v165
	v_add_f32_e32 v103, v103, v160
	v_add_f32_e32 v98, v98, v163
	;; [unrolled: 1-line block ×4, first 2 shown]
	v_sub_f32_e32 v156, v167, v169
	v_sub_f32_e32 v157, v146, v151
	v_add_f32_e32 v158, v143, v148
	ds_write2_b32 v171, v166, v168 offset0:14 offset1:21
	ds_write2_b32 v171, v137, v111 offset0:28 offset1:35
	ds_write_b32 v171, v141 offset:168
	ds_write2_b32 v5, v164, v156 offset1:7
	ds_write2_b32 v5, v157, v158 offset0:14 offset1:21
	v_sub_f32_e32 v111, v148, v143
	v_sub_f32_e32 v101, v101, v162
	v_add_f32_e32 v143, v149, v144
	v_sub_f32_e32 v96, v96, v161
	v_add_f32_e32 v144, v98, v103
	;; [unrolled: 2-line block ×3, first 2 shown]
	v_sub_f32_e32 v146, v98, v103
	v_sub_f32_e32 v103, v103, v143
	;; [unrolled: 1-line block ×3, first 2 shown]
	v_add_f32_e32 v143, v143, v144
	v_add_f32_e32 v144, v145, v96
	v_sub_f32_e32 v147, v145, v96
	v_sub_f32_e32 v96, v96, v101
	;; [unrolled: 1-line block ×3, first 2 shown]
	v_mul_f32_e32 v103, 0x3f4a47b2, v103
	v_add_f32_e32 v101, v144, v101
	v_mul_f32_e32 v144, 0x3d64c772, v98
	v_add_f32_e32 v148, v170, v143
	v_mul_f32_e32 v147, 0xbf08b237, v147
	v_mul_f32_e32 v149, 0x3f5ff5aa, v96
	v_fmamk_f32 v98, v98, 0x3d64c772, v103
	v_fma_f32 v144, 0x3f3bfb3b, v146, -v144
	v_fmamk_f32 v143, v143, 0xbf955555, v148
	v_fma_f32 v96, 0x3f5ff5aa, v96, -v147
	v_fma_f32 v103, 0xbf3bfb3b, v146, -v103
	;; [unrolled: 1-line block ×3, first 2 shown]
	v_fmamk_f32 v145, v145, 0x3eae86e6, v147
	v_add_f32_e32 v85, v85, v155
	v_add_f32_e32 v87, v87, v153
	;; [unrolled: 1-line block ×3, first 2 shown]
	v_fmac_f32_e32 v96, 0x3ee1c552, v101
	v_add_f32_e32 v98, v98, v143
	v_fmac_f32_e32 v145, 0x3ee1c552, v101
	v_sub_f32_e32 v84, v84, v154
	v_add_f32_e32 v105, v105, v110
	v_sub_f32_e32 v86, v86, v152
	v_add_f32_e32 v110, v87, v85
	;; [unrolled: 2-line block ×3, first 2 shown]
	v_fmac_f32_e32 v146, 0x3ee1c552, v101
	v_add_f32_e32 v101, v96, v144
	v_sub_f32_e32 v96, v144, v96
	v_sub_f32_e32 v144, v98, v145
	v_add_f32_e32 v98, v145, v98
	v_sub_f32_e32 v109, v87, v85
	v_sub_f32_e32 v85, v85, v105
	;; [unrolled: 1-line block ×3, first 2 shown]
	v_add_f32_e32 v105, v105, v110
	v_add_f32_e32 v110, v104, v86
	v_sub_f32_e32 v145, v104, v86
	v_sub_f32_e32 v86, v86, v84
	;; [unrolled: 1-line block ×3, first 2 shown]
	v_add_f32_e32 v103, v146, v103
	v_sub_f32_e32 v104, v84, v104
	v_mul_f32_e32 v85, 0x3f4a47b2, v85
	v_add_f32_e32 v84, v110, v84
	v_mul_f32_e32 v110, 0x3d64c772, v87
	v_add_f32_e32 v146, v150, v105
	v_mul_f32_e32 v145, 0xbf08b237, v145
	v_mul_f32_e32 v147, 0x3f5ff5aa, v86
	v_fmamk_f32 v87, v87, 0x3d64c772, v85
	v_fma_f32 v110, 0x3f3bfb3b, v109, -v110
	v_fmamk_f32 v105, v105, 0xbf955555, v146
	v_fma_f32 v85, 0xbf3bfb3b, v109, -v85
	v_fma_f32 v109, 0xbeae86e6, v104, -v147
	v_fmamk_f32 v104, v104, 0x3eae86e6, v145
	v_add_f32_e32 v79, v79, v140
	v_add_f32_e32 v77, v77, v142
	v_fma_f32 v86, 0x3f5ff5aa, v86, -v145
	v_add_f32_e32 v85, v85, v105
	v_fmac_f32_e32 v109, 0x3ee1c552, v84
	v_add_f32_e32 v87, v87, v105
	v_fmac_f32_e32 v104, 0x3ee1c552, v84
	v_sub_f32_e32 v78, v78, v139
	v_add_f32_e32 v90, v93, v90
	v_sub_f32_e32 v76, v76, v138
	v_add_f32_e32 v93, v77, v79
	;; [unrolled: 2-line block ×3, first 2 shown]
	v_fmac_f32_e32 v86, 0x3ee1c552, v84
	v_sub_f32_e32 v105, v85, v109
	v_add_f32_e32 v85, v109, v85
	v_sub_f32_e32 v109, v87, v104
	v_add_f32_e32 v87, v104, v87
	v_sub_f32_e32 v91, v77, v79
	v_sub_f32_e32 v79, v79, v90
	v_sub_f32_e32 v77, v90, v77
	v_add_f32_e32 v90, v90, v93
	v_add_f32_e32 v93, v89, v76
	v_sub_f32_e32 v104, v89, v76
	v_sub_f32_e32 v76, v76, v78
	v_add_f32_e32 v84, v86, v110
	v_sub_f32_e32 v86, v110, v86
	v_sub_f32_e32 v89, v78, v89
	v_mul_f32_e32 v79, 0x3f4a47b2, v79
	v_add_f32_e32 v78, v93, v78
	v_mul_f32_e32 v93, 0x3d64c772, v77
	v_add_f32_e32 v110, v117, v90
	v_mul_f32_e32 v104, 0xbf08b237, v104
	v_mul_f32_e32 v117, 0x3f5ff5aa, v76
	v_add_f32_e32 v68, v68, v99
	v_add_f32_e32 v71, v71, v97
	v_fmamk_f32 v77, v77, 0x3d64c772, v79
	v_fma_f32 v93, 0x3f3bfb3b, v91, -v93
	v_fmamk_f32 v90, v90, 0xbf955555, v110
	v_fma_f32 v79, 0xbf3bfb3b, v91, -v79
	v_fma_f32 v91, 0xbeae86e6, v89, -v117
	v_fmamk_f32 v89, v89, 0x3eae86e6, v104
	v_sub_f32_e32 v4, v69, v4
	v_add_f32_e32 v69, v81, v83
	v_sub_f32_e32 v70, v70, v95
	v_add_f32_e32 v81, v71, v68
	v_sub_f32_e32 v80, v82, v80
	v_add_f32_e32 v79, v79, v90
	v_fmac_f32_e32 v91, 0x3ee1c552, v78
	v_add_f32_e32 v77, v77, v90
	v_fmac_f32_e32 v89, 0x3ee1c552, v78
	v_sub_f32_e32 v82, v71, v68
	v_sub_f32_e32 v68, v68, v69
	;; [unrolled: 1-line block ×3, first 2 shown]
	v_add_f32_e32 v69, v69, v81
	v_add_f32_e32 v81, v80, v70
	v_sub_f32_e32 v83, v80, v70
	v_sub_f32_e32 v70, v70, v4
	v_add_f32_e32 v93, v93, v90
	v_sub_f32_e32 v90, v79, v91
	v_add_f32_e32 v79, v91, v79
	;; [unrolled: 2-line block ×3, first 2 shown]
	v_sub_f32_e32 v80, v4, v80
	v_mul_f32_e32 v68, 0x3f4a47b2, v68
	v_add_f32_e32 v4, v81, v4
	v_mul_f32_e32 v81, 0x3d64c772, v71
	v_add_f32_e32 v6, v6, v69
	v_mul_f32_e32 v83, 0xbf08b237, v83
	v_mul_f32_e32 v89, 0x3f5ff5aa, v70
	v_fmamk_f32 v71, v71, 0x3d64c772, v68
	v_fma_f32 v81, 0x3f3bfb3b, v82, -v81
	v_fmamk_f32 v69, v69, 0xbf955555, v6
	v_fma_f32 v70, 0x3f5ff5aa, v70, -v83
	v_fma_f32 v68, 0xbf3bfb3b, v82, -v68
	;; [unrolled: 1-line block ×3, first 2 shown]
	v_fmamk_f32 v80, v80, 0x3eae86e6, v83
	v_add_f32_e32 v0, v64, v0
	v_add_f32_e32 v7, v67, v7
	;; [unrolled: 1-line block ×3, first 2 shown]
	v_fmac_f32_e32 v70, 0x3ee1c552, v4
	v_add_f32_e32 v68, v68, v69
	v_add_f32_e32 v69, v71, v69
	v_fmac_f32_e32 v80, 0x3ee1c552, v4
	v_sub_f32_e32 v3, v65, v3
	v_add_f32_e32 v65, v73, v75
	v_sub_f32_e32 v1, v66, v1
	v_add_f32_e32 v66, v7, v0
	v_sub_f32_e32 v67, v74, v72
	v_fmac_f32_e32 v82, 0x3ee1c552, v4
	v_add_f32_e32 v4, v70, v81
	v_sub_f32_e32 v70, v81, v70
	v_sub_f32_e32 v81, v69, v80
	v_add_f32_e32 v64, v80, v69
	v_sub_f32_e32 v69, v7, v0
	v_sub_f32_e32 v0, v0, v65
	;; [unrolled: 1-line block ×3, first 2 shown]
	v_add_f32_e32 v65, v65, v66
	v_add_f32_e32 v66, v67, v1
	v_sub_f32_e32 v72, v67, v1
	v_sub_f32_e32 v1, v1, v3
	v_sub_f32_e32 v67, v3, v67
	v_mul_f32_e32 v0, 0x3f4a47b2, v0
	v_add_f32_e32 v3, v66, v3
	v_mul_f32_e32 v66, 0x3d64c772, v7
	v_add_f32_e32 v2, v2, v65
	v_mul_f32_e32 v72, 0xbf08b237, v72
	v_mul_f32_e32 v73, 0x3f5ff5aa, v1
	v_add_f32_e32 v141, v169, v167
	v_fma_f32 v76, 0x3f5ff5aa, v76, -v104
	v_fmamk_f32 v7, v7, 0x3d64c772, v0
	v_fma_f32 v66, 0x3f3bfb3b, v69, -v66
	v_fmamk_f32 v65, v65, 0xbf955555, v2
	v_fma_f32 v1, 0x3f5ff5aa, v1, -v72
	v_fma_f32 v0, 0xbf3bfb3b, v69, -v0
	;; [unrolled: 1-line block ×3, first 2 shown]
	ds_write2_b32 v5, v111, v137 offset0:28 offset1:35
	ds_write_b32 v5, v141 offset:168
	ds_write2_b32 v107, v148, v144 offset1:7
	ds_write2_b32 v107, v143, v101 offset0:14 offset1:21
	ds_write2_b32 v107, v96, v103 offset0:28 offset1:35
	ds_write_b32 v107, v98 offset:168
	ds_write2_b32 v94, v146, v109 offset1:7
	ds_write2_b32 v94, v105, v84 offset0:14 offset1:21
	ds_write2_b32 v94, v86, v85 offset0:28 offset1:35
	v_mul_lo_u16 v5, 0x4f, v55
	v_fmamk_f32 v67, v67, 0x3eae86e6, v72
	v_fmac_f32_e32 v76, 0x3ee1c552, v78
	v_add_f32_e32 v66, v66, v65
	v_fmac_f32_e32 v1, 0x3ee1c552, v3
	v_add_f32_e32 v0, v0, v65
	v_fmac_f32_e32 v69, 0x3ee1c552, v3
	v_lshrrev_b16 v5, 8, v5
	v_add_f32_e32 v7, v7, v65
	v_fmac_f32_e32 v67, 0x3ee1c552, v3
	v_add_f32_e32 v78, v76, v93
	v_sub_f32_e32 v71, v68, v82
	v_sub_f32_e32 v76, v93, v76
	v_add_f32_e32 v68, v82, v68
	v_add_f32_e32 v3, v1, v66
	v_sub_f32_e32 v1, v66, v1
	v_sub_f32_e32 v65, v0, v69
	v_add_f32_e32 v0, v69, v0
	ds_write_b32 v94, v87 offset:168
	ds_write2_b32 v106, v110, v91 offset1:7
	ds_write2_b32 v106, v90, v78 offset0:14 offset1:21
	ds_write2_b32 v106, v76, v79 offset0:28 offset1:35
	ds_write_b32 v106, v77 offset:168
	ds_write2_b32 v92, v6, v81 offset1:7
	ds_write2_b32 v92, v71, v4 offset0:14 offset1:21
	ds_write2_b32 v92, v70, v68 offset0:28 offset1:35
	v_sub_nc_u16 v4, v120, v5
	v_sub_f32_e32 v66, v7, v67
	v_add_f32_e32 v7, v67, v7
	ds_write_b32 v92, v64 offset:168
	ds_write2_b32 v108, v2, v66 offset1:7
	ds_write2_b32 v108, v65, v3 offset0:14 offset1:21
	v_lshrrev_b16 v3, 1, v4
	ds_write2_b32 v108, v1, v0 offset0:28 offset1:35
	ds_write_b32 v108, v7 offset:168
	v_mul_lo_u16 v0, 0x4f, v53
	v_mul_u32_u24_e32 v2, 6, v118
	s_waitcnt lgkmcnt(0)
	v_and_b32_e32 v1, 0x7f, v3
	v_mul_lo_u16 v3, 0x4f, v54
	v_lshrrev_b16 v0, 8, v0
	v_lshlrev_b32_e32 v92, 3, v2
	s_barrier
	v_add_nc_u16 v1, v1, v5
	v_lshrrev_b16 v3, 8, v3
	v_sub_nc_u16 v2, v112, v0
	buffer_gl0_inv
	s_clause 0x1
	global_load_dwordx4 v[4:7], v92, s[12:13] offset:336
	global_load_dwordx4 v[74:77], v92, s[12:13] offset:352
	v_lshrrev_b16 v1, 5, v1
	v_lshrrev_b16 v2, 1, v2
	v_mul_lo_u16 v1, v1, 49
	v_and_b32_e32 v2, 0x7f, v2
	v_sub_nc_u16 v1, v120, v1
	v_add_nc_u16 v0, v2, v0
	v_mov_b32_e32 v2, 0x4e5f
	v_and_b32_e32 v66, 0xff, v1
	v_sub_nc_u16 v1, v113, v3
	v_lshrrev_b16 v0, 5, v0
	v_mul_u32_u24_sdwa v53, v115, v2 dst_sel:DWORD dst_unused:UNUSED_PAD src0_sel:WORD_0 src1_sel:DWORD
	v_mul_u32_u24_sdwa v2, v114, v2 dst_sel:DWORD dst_unused:UNUSED_PAD src0_sel:WORD_0 src1_sel:DWORD
	v_mul_u32_u24_e32 v54, 6, v66
	v_lshrrev_b16 v1, 1, v1
	v_mul_lo_u16 v0, v0, 49
	v_lshrrev_b32_e32 v53, 16, v53
	v_lshrrev_b32_e32 v2, 16, v2
	v_lshlrev_b32_e32 v54, 3, v54
	v_and_b32_e32 v1, 0x7f, v1
	v_sub_nc_u16 v0, v112, v0
	v_sub_nc_u16 v55, v115, v53
	s_clause 0x1
	global_load_dwordx4 v[78:81], v54, s[12:13] offset:336
	global_load_dwordx4 v[82:85], v54, s[12:13] offset:352
	v_add_nc_u16 v1, v1, v3
	v_and_b32_e32 v67, 0xff, v0
	v_lshrrev_b16 v0, 1, v55
	v_sub_nc_u16 v3, v114, v2
	v_lshrrev_b16 v1, 5, v1
	v_mul_u32_u24_e32 v55, 6, v67
	v_add_nc_u16 v0, v0, v53
	v_lshrrev_b16 v3, 1, v3
	v_mul_lo_u16 v1, v1, 49
	v_lshlrev_b32_e32 v53, 3, v55
	v_lshrrev_b16 v0, 5, v0
	v_add_nc_u16 v2, v3, v2
	v_sub_nc_u16 v1, v113, v1
	s_clause 0x1
	global_load_dwordx4 v[94:97], v53, s[12:13] offset:336
	global_load_dwordx4 v[106:109], v53, s[12:13] offset:352
	v_mul_lo_u16 v0, v0, 49
	v_and_b32_e32 v65, 0xff, v1
	v_lshrrev_b16 v1, 5, v2
	v_sub_nc_u16 v0, v115, v0
	v_mul_u32_u24_e32 v2, 6, v65
	v_mul_lo_u16 v1, v1, 49
	v_and_b32_e32 v64, 0xffff, v0
	v_lshlrev_b32_e32 v0, 3, v2
	v_sub_nc_u16 v1, v114, v1
	v_mul_u32_u24_e32 v2, 6, v64
	global_load_dwordx4 v[137:140], v0, s[12:13] offset:336
	v_and_b32_e32 v55, 0xffff, v1
	v_lshlrev_b32_e32 v1, 3, v2
	v_mul_u32_u24_e32 v2, 6, v55
	v_lshl_add_u32 v55, v55, 2, 0
	global_load_dwordx4 v[148:151], v1, s[12:13] offset:336
	v_lshlrev_b32_e32 v2, 3, v2
	s_clause 0x9
	global_load_dwordx4 v[152:155], v2, s[12:13] offset:336
	global_load_dwordx4 v[156:159], v0, s[12:13] offset:352
	;; [unrolled: 1-line block ×10, first 2 shown]
	ds_read2_b32 v[53:54], v122 offset0:87 offset1:136
	ds_read2_b32 v[86:87], v116 offset0:125 offset1:174
	;; [unrolled: 1-line block ×6, first 2 shown]
	s_waitcnt vmcnt(17) lgkmcnt(5)
	v_mul_f32_e32 v68, v53, v5
	s_waitcnt lgkmcnt(4)
	v_mul_f32_e32 v69, v87, v7
	v_mul_f32_e32 v104, v50, v5
	;; [unrolled: 1-line block ×4, first 2 shown]
	v_fma_f32 v144, v50, v4, -v68
	v_mul_f32_e32 v50, v54, v5
	v_fma_f32 v145, v31, v6, -v69
	s_waitcnt lgkmcnt(3)
	v_mul_f32_e32 v31, v89, v7
	v_mul_f32_e32 v72, v46, v7
	s_waitcnt vmcnt(16) lgkmcnt(2)
	v_mul_f32_e32 v7, v98, v75
	v_fmac_f32_e32 v104, v53, v4
	v_fma_f32 v68, v51, v4, -v50
	v_fmac_f32_e32 v71, v54, v4
	v_fmac_f32_e32 v105, v87, v6
	ds_read2_b32 v[4:5], v122 offset0:185 offset1:234
	v_fma_f32 v69, v46, v6, -v31
	v_mul_f32_e32 v31, v99, v75
	v_fmac_f32_e32 v72, v89, v6
	v_fma_f32 v146, v48, v74, -v7
	v_mul_f32_e32 v111, v25, v77
	ds_read2_b32 v[6:7], v123 offset0:103 offset1:152
	v_fma_f32 v70, v49, v74, -v31
	s_waitcnt lgkmcnt(3)
	v_mul_f32_e32 v31, v189, v77
	v_mul_f32_e32 v73, v49, v75
	v_fmac_f32_e32 v111, v189, v76
	ds_read2_b32 v[189:190], v135 offset0:65 offset1:114
	v_mul_f32_e32 v110, v48, v75
	s_waitcnt lgkmcnt(3)
	v_mul_f32_e32 v46, v141, v77
	v_mul_f32_e32 v75, v44, v77
	v_fmac_f32_e32 v73, v99, v74
	v_fma_f32 v147, v25, v76, -v31
	s_waitcnt vmcnt(15)
	v_mul_f32_e32 v99, v42, v79
	v_fmac_f32_e32 v110, v98, v74
	v_fma_f32 v74, v44, v76, -v46
	v_mul_f32_e32 v25, v90, v81
	v_fmac_f32_e32 v75, v141, v76
	s_waitcnt lgkmcnt(2)
	v_mul_f32_e32 v31, v4, v79
	ds_read2_b32 v[76:77], v136 offset0:111 offset1:160
	v_fmac_f32_e32 v99, v4, v78
	v_fma_f32 v93, v47, v80, -v25
	s_waitcnt vmcnt(14) lgkmcnt(2)
	v_mul_f32_e32 v4, v6, v83
	v_mul_f32_e32 v25, v142, v85
	v_fma_f32 v117, v42, v78, -v31
	v_mul_f32_e32 v103, v45, v85
	ds_read2_b32 v[78:79], v116 offset0:27 offset1:76
	v_fma_f32 v141, v40, v82, -v4
	v_mul_f32_e32 v98, v47, v81
	v_fma_f32 v101, v45, v84, -v25
	v_fmac_f32_e32 v103, v142, v84
	s_waitcnt vmcnt(13)
	v_mul_f32_e32 v46, v43, v95
	s_waitcnt lgkmcnt(2)
	v_mul_f32_e32 v4, v189, v97
	v_mul_f32_e32 v142, v40, v83
	;; [unrolled: 1-line block ×3, first 2 shown]
	s_waitcnt vmcnt(12)
	v_mul_f32_e32 v49, v41, v107
	v_fmac_f32_e32 v46, v5, v94
	v_fma_f32 v47, v38, v96, -v4
	ds_read2_b32 v[4:5], v135 offset0:163 offset1:212
	v_fmac_f32_e32 v142, v6, v82
	v_mul_f32_e32 v6, v7, v107
	v_fma_f32 v45, v43, v94, -v25
	s_waitcnt lgkmcnt(2)
	v_mul_f32_e32 v25, v76, v109
	v_fmac_f32_e32 v98, v90, v80
	v_mul_f32_e32 v48, v38, v97
	v_fma_f32 v51, v41, v106, -v6
	v_mul_f32_e32 v54, v32, v109
	v_fmac_f32_e32 v49, v7, v106
	v_fma_f32 v53, v32, v108, -v25
	ds_read2_b32 v[80:81], v123 offset0:201 offset1:250
	s_waitcnt vmcnt(11)
	v_mul_f32_e32 v6, v190, v140
	s_waitcnt lgkmcnt(2)
	v_mul_f32_e32 v7, v78, v138
	v_mul_f32_e32 v41, v36, v138
	;; [unrolled: 1-line block ×3, first 2 shown]
	ds_read2_b32 v[94:95], v102 offset0:89 offset1:138
	v_fma_f32 v38, v39, v139, -v6
	v_fma_f32 v39, v36, v137, -v7
	v_fmac_f32_e32 v41, v78, v137
	s_waitcnt vmcnt(10)
	v_mul_f32_e32 v6, v79, v149
	v_mul_f32_e32 v32, v37, v149
	;; [unrolled: 1-line block ×3, first 2 shown]
	s_waitcnt vmcnt(9)
	v_mul_f32_e32 v25, v86, v153
	v_mul_f32_e32 v7, v30, v153
	v_fma_f32 v31, v37, v148, -v6
	s_waitcnt lgkmcnt(2)
	v_mul_f32_e32 v6, v4, v151
	v_fmac_f32_e32 v32, v79, v148
	ds_read2_b32 v[78:79], v124 offset0:81 offset1:130
	v_fmac_f32_e32 v36, v4, v150
	v_mul_f32_e32 v4, v5, v155
	v_fma_f32 v34, v34, v150, -v6
	v_fma_f32 v6, v30, v152, -v25
	v_mul_f32_e32 v30, v35, v155
	s_waitcnt vmcnt(8)
	v_mul_f32_e32 v37, v77, v159
	v_mul_f32_e32 v43, v33, v159
	v_fma_f32 v25, v35, v154, -v4
	v_mul_f32_e32 v44, v28, v157
	v_fmac_f32_e32 v30, v5, v154
	v_fma_f32 v42, v33, v158, -v37
	ds_read2_b32 v[4:5], v124 offset0:179 offset1:228
	s_waitcnt vmcnt(7)
	v_mul_f32_e32 v33, v29, v161
	s_waitcnt lgkmcnt(3)
	v_mul_f32_e32 v35, v80, v157
	v_mul_f32_e32 v37, v81, v161
	v_fmac_f32_e32 v44, v80, v156
	ds_read2_b32 v[82:83], v130 offset0:21 offset1:70
	v_fmac_f32_e32 v33, v81, v160
	ds_read2_b32 v[80:81], v128 offset0:59 offset1:108
	v_fma_f32 v50, v28, v156, -v35
	s_waitcnt lgkmcnt(3)
	v_mul_f32_e32 v28, v78, v163
	v_fmac_f32_e32 v54, v76, v108
	v_fma_f32 v29, v29, v160, -v37
	v_mul_f32_e32 v37, v26, v163
	s_waitcnt vmcnt(6)
	v_mul_f32_e32 v76, v79, v167
	v_fma_f32 v35, v26, v162, -v28
	v_mul_f32_e32 v28, v188, v165
	s_waitcnt vmcnt(5)
	v_mul_f32_e32 v106, v22, v169
	v_mul_f32_e32 v26, v24, v165
	v_fmac_f32_e32 v37, v78, v162
	v_mul_f32_e32 v78, v23, v169
	v_fma_f32 v24, v24, v164, -v28
	v_mul_f32_e32 v28, v27, v167
	v_fma_f32 v27, v27, v166, -v76
	s_waitcnt lgkmcnt(2)
	v_mul_f32_e32 v76, v4, v169
	v_fmac_f32_e32 v106, v4, v168
	v_mul_f32_e32 v4, v95, v171
	v_fmac_f32_e32 v7, v86, v152
	v_fmac_f32_e32 v43, v77, v158
	v_mul_f32_e32 v77, v5, v169
	v_fmac_f32_e32 v78, v5, v168
	ds_read2_b32 v[84:85], v128 offset0:157 offset1:206
	s_waitcnt lgkmcnt(1)
	v_mul_f32_e32 v5, v80, v171
	v_fma_f32 v156, v13, v170, -v4
	ds_read2_b32 v[86:87], v130 offset0:119 offset1:168
	s_waitcnt vmcnt(4)
	v_mul_f32_e32 v4, v82, v173
	v_fma_f32 v155, v22, v168, -v76
	v_fma_f32 v76, v23, v168, -v77
	;; [unrolled: 1-line block ×3, first 2 shown]
	v_fmac_f32_e32 v28, v79, v166
	v_fma_f32 v151, v18, v172, -v4
	ds_read2_b32 v[4:5], v100 offset0:127 offset1:176
	v_mul_f32_e32 v107, v13, v171
	v_mul_f32_e32 v79, v20, v171
	;; [unrolled: 1-line block ×3, first 2 shown]
	s_waitcnt vmcnt(3)
	v_mul_f32_e32 v13, v83, v177
	v_mul_f32_e32 v150, v21, v175
	;; [unrolled: 1-line block ×3, first 2 shown]
	v_fmac_f32_e32 v79, v80, v170
	v_fma_f32 v153, v21, v174, -v22
	v_fma_f32 v21, v19, v176, -v13
	s_waitcnt lgkmcnt(2)
	v_mul_f32_e32 v18, v84, v179
	s_waitcnt vmcnt(2)
	v_mul_f32_e32 v20, v85, v183
	v_fmac_f32_e32 v150, v81, v174
	s_waitcnt lgkmcnt(1)
	v_mul_f32_e32 v13, v86, v181
	s_waitcnt vmcnt(1)
	v_mul_f32_e32 v80, v87, v185
	v_fmac_f32_e32 v152, v82, v172
	v_mul_f32_e32 v22, v19, v177
	v_mul_f32_e32 v23, v16, v179
	v_fma_f32 v148, v16, v178, -v18
	v_fma_f32 v18, v17, v182, -v20
	v_mul_f32_e32 v19, v17, v183
	v_mul_f32_e32 v20, v14, v181
	;; [unrolled: 1-line block ×3, first 2 shown]
	v_fma_f32 v17, v14, v180, -v13
	v_fma_f32 v13, v15, v184, -v80
	s_waitcnt lgkmcnt(0)
	v_mul_f32_e32 v81, v4, v187
	v_mul_f32_e32 v14, v10, v187
	s_waitcnt vmcnt(0)
	v_mul_f32_e32 v82, v94, v1
	v_add_f32_e32 v15, v144, v156
	v_add_f32_e32 v80, v145, v155
	v_fmac_f32_e32 v107, v95, v170
	v_fmac_f32_e32 v22, v83, v176
	;; [unrolled: 1-line block ×3, first 2 shown]
	v_fma_f32 v10, v10, v186, -v81
	v_fmac_f32_e32 v14, v4, v186
	v_fma_f32 v4, v12, v0, -v82
	v_add_f32_e32 v81, v146, v147
	v_add_f32_e32 v83, v80, v15
	v_mul_f32_e32 v1, v12, v1
	v_sub_f32_e32 v87, v105, v106
	v_sub_f32_e32 v12, v111, v110
	v_fmac_f32_e32 v20, v86, v180
	v_add_f32_e32 v86, v81, v83
	v_sub_f32_e32 v83, v15, v81
	v_sub_f32_e32 v90, v104, v107
	;; [unrolled: 1-line block ×3, first 2 shown]
	v_fmac_f32_e32 v23, v84, v178
	v_fmac_f32_e32 v19, v85, v182
	v_mul_f32_e32 v82, v5, v3
	v_sub_f32_e32 v89, v81, v80
	v_add_f32_e32 v81, v88, v86
	v_add_f32_e32 v95, v12, v87
	v_mul_f32_e32 v85, 0x3f4a47b2, v83
	v_sub_f32_e32 v84, v90, v12
	v_mul_f32_e32 v88, 0xbf08b237, v91
	v_mul_f32_e32 v3, v11, v3
	v_fmac_f32_e32 v1, v94, v0
	v_sub_f32_e32 v0, v87, v90
	v_add_f32_e32 v83, v95, v90
	v_fmamk_f32 v86, v86, 0xbf955555, v81
	v_fmamk_f32 v91, v89, 0x3d64c772, v85
	;; [unrolled: 1-line block ×3, first 2 shown]
	v_fma_f32 v11, v11, v2, -v82
	v_sub_f32_e32 v15, v80, v15
	v_mul_f32_e32 v80, 0x3d64c772, v89
	v_fmac_f32_e32 v3, v5, v2
	v_mul_f32_e32 v2, 0x3f5ff5aa, v0
	v_add_f32_e32 v82, v91, v86
	v_fmac_f32_e32 v12, 0x3ee1c552, v83
	v_fma_f32 v80, 0x3f3bfb3b, v15, -v80
	v_fma_f32 v15, 0xbf3bfb3b, v15, -v85
	;; [unrolled: 1-line block ×4, first 2 shown]
	v_fmac_f32_e32 v26, v188, v164
	v_add_f32_e32 v80, v80, v86
	v_add_f32_e32 v15, v15, v86
	v_fmac_f32_e32 v84, 0x3ee1c552, v83
	v_fmac_f32_e32 v85, 0x3ee1c552, v83
	v_add_f32_e32 v83, v12, v82
	ds_read_b32 v164, v121
	ds_read_b32 v87, v125
	;; [unrolled: 1-line block ×7, first 2 shown]
	s_waitcnt lgkmcnt(0)
	s_barrier
	v_add_f32_e32 v86, v84, v15
	v_sub_f32_e32 v88, v80, v85
	buffer_gl0_inv
	ds_write2_b32 v121, v81, v83 offset1:49
	v_add_f32_e32 v81, v68, v77
	v_add_f32_e32 v83, v69, v76
	v_sub_f32_e32 v15, v15, v84
	v_add_f32_e32 v84, v70, v74
	ds_write2_b32 v121, v86, v88 offset0:98 offset1:147
	v_add_f32_e32 v80, v85, v80
	v_add_f32_e32 v85, v83, v81
	v_sub_f32_e32 v88, v72, v78
	v_sub_f32_e32 v89, v75, v73
	;; [unrolled: 1-line block ×5, first 2 shown]
	v_add_f32_e32 v85, v84, v85
	v_sub_f32_e32 v83, v84, v83
	v_add_f32_e32 v84, v89, v88
	v_sub_f32_e32 v91, v89, v88
	v_sub_f32_e32 v88, v88, v90
	v_mul_f32_e32 v81, 0x3f4a47b2, v81
	v_add_f32_e32 v63, v63, v85
	v_sub_f32_e32 v89, v90, v89
	v_add_f32_e32 v84, v84, v90
	v_mul_f32_e32 v90, 0x3f5ff5aa, v88
	v_mul_f32_e32 v91, 0xbf08b237, v91
	v_fmamk_f32 v94, v83, 0x3d64c772, v81
	v_mul_f32_e32 v83, 0x3d64c772, v83
	v_fmamk_f32 v85, v85, 0xbf955555, v63
	v_fma_f32 v81, 0xbf3bfb3b, v86, -v81
	v_fma_f32 v90, 0xbeae86e6, v89, -v90
	v_fmamk_f32 v89, v89, 0x3eae86e6, v91
	v_fma_f32 v83, 0x3f3bfb3b, v86, -v83
	v_fma_f32 v86, 0x3f5ff5aa, v88, -v91
	v_add_f32_e32 v94, v94, v85
	v_add_f32_e32 v81, v81, v85
	v_fmac_f32_e32 v89, 0x3ee1c552, v84
	v_fmac_f32_e32 v90, 0x3ee1c552, v84
	v_add_f32_e32 v83, v83, v85
	v_fmac_f32_e32 v86, 0x3ee1c552, v84
	v_sub_f32_e32 v12, v82, v12
	v_add_f32_e32 v84, v117, v153
	v_add_f32_e32 v85, v93, v151
	ds_write2_b32 v121, v80, v15 offset0:196 offset1:245
	v_add_f32_e32 v15, v89, v94
	v_add_f32_e32 v80, v90, v81
	v_sub_f32_e32 v82, v83, v86
	v_add_f32_e32 v83, v86, v83
	v_add_nc_u32_e32 v166, 0x600, v121
	ds_write2_b32 v122, v12, v63 offset0:38 offset1:87
	v_add_f32_e32 v12, v141, v101
	v_add_f32_e32 v63, v85, v84
	ds_write2_b32 v122, v15, v80 offset0:136 offset1:185
	ds_write2_b32 v166, v82, v83 offset0:106 offset1:155
	v_sub_f32_e32 v15, v98, v152
	v_sub_f32_e32 v80, v103, v142
	;; [unrolled: 1-line block ×3, first 2 shown]
	v_add_f32_e32 v63, v12, v63
	v_sub_f32_e32 v83, v99, v150
	v_sub_f32_e32 v12, v12, v85
	;; [unrolled: 1-line block ×3, first 2 shown]
	v_add_f32_e32 v88, v80, v15
	v_add_f32_e32 v62, v62, v63
	v_mul_f32_e32 v82, 0x3f4a47b2, v82
	v_sub_f32_e32 v15, v15, v83
	v_sub_f32_e32 v80, v83, v80
	v_mul_f32_e32 v86, 0xbf08b237, v86
	v_fmamk_f32 v63, v63, 0xbf955555, v62
	v_fmamk_f32 v91, v12, 0x3d64c772, v82
	v_sub_f32_e32 v84, v85, v84
	v_mul_f32_e32 v12, 0x3d64c772, v12
	v_mul_f32_e32 v85, 0x3f5ff5aa, v15
	v_add_f32_e32 v88, v88, v83
	v_fmamk_f32 v83, v80, 0x3eae86e6, v86
	v_sub_f32_e32 v81, v81, v90
	v_add_f32_e32 v90, v91, v63
	v_fma_f32 v91, 0x3f3bfb3b, v84, -v12
	v_fma_f32 v82, 0xbf3bfb3b, v84, -v82
	;; [unrolled: 1-line block ×4, first 2 shown]
	v_fmac_f32_e32 v83, 0x3ee1c552, v88
	v_lshl_add_u32 v12, v66, 2, 0
	v_add_f32_e32 v66, v91, v63
	v_add_f32_e32 v63, v82, v63
	v_fmac_f32_e32 v80, 0x3ee1c552, v88
	v_fmac_f32_e32 v84, 0x3ee1c552, v88
	v_sub_f32_e32 v82, v94, v89
	v_add_f32_e32 v89, v45, v148
	v_add_f32_e32 v91, v47, v21
	;; [unrolled: 1-line block ×3, first 2 shown]
	v_add_nc_u32_e32 v15, 0x800, v12
	v_add_f32_e32 v86, v80, v63
	v_sub_f32_e32 v88, v66, v84
	v_add_nc_u32_e32 v157, 0xc00, v12
	v_fmac_f32_e32 v48, v189, v96
	ds_write2_b32 v116, v81, v82 offset0:76 offset1:125
	ds_write2_b32 v15, v62, v85 offset0:174 offset1:223
	;; [unrolled: 1-line block ×3, first 2 shown]
	v_add_f32_e32 v62, v51, v53
	v_add_f32_e32 v81, v91, v89
	v_sub_f32_e32 v63, v63, v80
	v_sub_f32_e32 v80, v48, v22
	;; [unrolled: 1-line block ×3, first 2 shown]
	v_add_f32_e32 v66, v84, v66
	v_add_f32_e32 v81, v62, v81
	v_sub_f32_e32 v84, v89, v62
	v_sub_f32_e32 v85, v46, v23
	;; [unrolled: 1-line block ×4, first 2 shown]
	v_add_f32_e32 v88, v82, v80
	v_add_f32_e32 v94, v59, v81
	v_mul_f32_e32 v84, 0x3f4a47b2, v84
	v_sub_f32_e32 v80, v80, v85
	v_sub_f32_e32 v82, v85, v82
	v_mul_f32_e32 v86, 0xbf08b237, v86
	v_fmamk_f32 v81, v81, 0xbf955555, v94
	v_fmamk_f32 v59, v62, 0x3d64c772, v84
	v_sub_f32_e32 v89, v91, v89
	v_mul_f32_e32 v62, 0x3d64c772, v62
	v_mul_f32_e32 v95, 0x3f5ff5aa, v80
	v_add_f32_e32 v88, v88, v85
	v_fmamk_f32 v85, v82, 0x3eae86e6, v86
	v_add_f32_e32 v91, v59, v81
	v_lshl_add_u32 v59, v67, 2, 0
	v_fma_f32 v62, 0x3f3bfb3b, v89, -v62
	v_fma_f32 v67, 0xbf3bfb3b, v89, -v84
	;; [unrolled: 1-line block ×4, first 2 shown]
	v_fmac_f32_e32 v85, 0x3ee1c552, v88
	v_add_f32_e32 v62, v62, v81
	v_add_f32_e32 v67, v67, v81
	v_fmac_f32_e32 v82, 0x3ee1c552, v88
	v_fmac_f32_e32 v80, 0x3ee1c552, v88
	v_add_f32_e32 v81, v39, v18
	v_add_f32_e32 v86, v38, v17
	v_fmac_f32_e32 v40, v190, v139
	v_add_f32_e32 v84, v85, v91
	v_add_nc_u32_e32 v159, 0x1000, v59
	v_add_f32_e32 v88, v82, v67
	v_sub_f32_e32 v89, v62, v80
	ds_write2_b32 v157, v66, v63 offset0:114 offset1:163
	v_add_f32_e32 v63, v50, v42
	v_add_f32_e32 v66, v86, v81
	ds_write2_b32 v159, v94, v84 offset0:5 offset1:54
	ds_write2_b32 v159, v88, v89 offset0:103 offset1:152
	v_sub_f32_e32 v84, v40, v20
	v_sub_f32_e32 v88, v43, v44
	;; [unrolled: 1-line block ×3, first 2 shown]
	v_add_f32_e32 v66, v63, v66
	v_sub_f32_e32 v94, v41, v19
	v_sub_f32_e32 v63, v63, v86
	v_add_f32_e32 v95, v88, v84
	v_sub_f32_e32 v96, v88, v84
	v_add_f32_e32 v97, v58, v66
	v_mul_f32_e32 v58, 0x3f4a47b2, v89
	v_sub_f32_e32 v84, v84, v94
	v_sub_f32_e32 v88, v94, v88
	v_add_f32_e32 v89, v95, v94
	v_mul_f32_e32 v95, 0xbf08b237, v96
	v_fmamk_f32 v94, v63, 0x3d64c772, v58
	v_sub_f32_e32 v81, v86, v81
	v_mul_f32_e32 v63, 0x3d64c772, v63
	v_add_f32_e32 v62, v80, v62
	v_mul_f32_e32 v80, 0x3f5ff5aa, v84
	v_fmamk_f32 v66, v66, 0xbf955555, v97
	v_fmamk_f32 v86, v88, 0x3eae86e6, v95
	v_fma_f32 v63, 0x3f3bfb3b, v81, -v63
	v_fma_f32 v81, 0xbf3bfb3b, v81, -v58
	;; [unrolled: 1-line block ×4, first 2 shown]
	v_add_f32_e32 v94, v94, v66
	v_fmac_f32_e32 v86, 0x3ee1c552, v89
	v_lshl_add_u32 v58, v65, 2, 0
	v_add_f32_e32 v63, v63, v66
	v_add_f32_e32 v65, v81, v66
	v_fmac_f32_e32 v80, 0x3ee1c552, v89
	v_fmac_f32_e32 v84, 0x3ee1c552, v89
	v_sub_f32_e32 v66, v67, v82
	v_add_f32_e32 v88, v31, v10
	v_add_f32_e32 v89, v34, v13
	;; [unrolled: 1-line block ×3, first 2 shown]
	v_add_nc_u32_e32 v161, 0x1400, v58
	v_add_f32_e32 v81, v80, v65
	v_sub_f32_e32 v82, v63, v84
	ds_write2_b32 v159, v62, v66 offset0:201 offset1:250
	ds_write2_b32 v161, v97, v67 offset0:92 offset1:141
	;; [unrolled: 1-line block ×3, first 2 shown]
	v_add_f32_e32 v62, v29, v35
	v_add_f32_e32 v66, v89, v88
	v_sub_f32_e32 v65, v65, v80
	v_sub_f32_e32 v67, v36, v16
	;; [unrolled: 1-line block ×3, first 2 shown]
	v_add_f32_e32 v63, v84, v63
	v_add_f32_e32 v66, v62, v66
	v_sub_f32_e32 v81, v88, v62
	v_sub_f32_e32 v82, v32, v14
	v_add_f32_e32 v84, v80, v67
	v_sub_f32_e32 v95, v80, v67
	v_sub_f32_e32 v62, v62, v89
	v_add_f32_e32 v96, v57, v66
	v_mul_f32_e32 v57, 0x3f4a47b2, v81
	v_sub_f32_e32 v80, v82, v80
	v_add_f32_e32 v81, v84, v82
	v_mul_f32_e32 v84, 0xbf08b237, v95
	v_sub_f32_e32 v67, v67, v82
	v_sub_f32_e32 v88, v89, v88
	v_mul_f32_e32 v82, 0x3d64c772, v62
	v_fmamk_f32 v66, v66, 0xbf955555, v96
	v_fmamk_f32 v62, v62, 0x3d64c772, v57
	;; [unrolled: 1-line block ×3, first 2 shown]
	v_mul_f32_e32 v95, 0x3f5ff5aa, v67
	v_fma_f32 v82, 0x3f3bfb3b, v88, -v82
	v_fma_f32 v88, 0xbf3bfb3b, v88, -v57
	v_add_f32_e32 v62, v62, v66
	v_fmac_f32_e32 v89, 0x3ee1c552, v81
	v_lshl_add_u32 v57, v64, 2, 0
	v_fma_f32 v80, 0xbeae86e6, v80, -v95
	v_add_nc_u32_e32 v162, 0x1800, v58
	v_fma_f32 v64, 0x3f5ff5aa, v67, -v84
	v_add_f32_e32 v67, v89, v62
	v_add_nc_u32_e32 v163, 0x1800, v57
	v_add_f32_e32 v84, v88, v66
	v_fmac_f32_e32 v80, 0x3ee1c552, v81
	v_add_f32_e32 v66, v82, v66
	v_fmac_f32_e32 v64, 0x3ee1c552, v81
	ds_write2_b32 v162, v63, v65 offset0:32 offset1:81
	ds_write2_b32 v163, v96, v67 offset0:179 offset1:228
	v_add_f32_e32 v65, v6, v11
	v_add_f32_e32 v67, v25, v4
	;; [unrolled: 1-line block ×3, first 2 shown]
	v_sub_f32_e32 v81, v66, v64
	v_add_nc_u32_e32 v165, 0x1c00, v57
	v_add_f32_e32 v64, v64, v66
	v_add_f32_e32 v66, v24, v27
	;; [unrolled: 1-line block ×3, first 2 shown]
	v_sub_f32_e32 v80, v84, v80
	v_sub_f32_e32 v84, v30, v1
	;; [unrolled: 1-line block ×3, first 2 shown]
	ds_write2_b32 v165, v63, v81 offset0:21 offset1:70
	v_add_f32_e32 v63, v66, v82
	v_sub_f32_e32 v82, v7, v3
	v_add_f32_e32 v167, v71, v79
	v_add_f32_e32 v95, v88, v84
	;; [unrolled: 1-line block ×3, first 2 shown]
	v_sub_f32_e32 v81, v65, v66
	v_sub_f32_e32 v66, v66, v67
	;; [unrolled: 1-line block ×5, first 2 shown]
	v_add_f32_e32 v95, v95, v82
	v_sub_f32_e32 v82, v84, v82
	v_add_f32_e32 v168, v73, v75
	v_add_f32_e32 v73, v72, v167
	v_sub_f32_e32 v69, v69, v76
	v_sub_f32_e32 v169, v74, v70
	v_mul_f32_e32 v81, 0x3f4a47b2, v81
	v_add_f32_e32 v56, v56, v63
	v_mul_f32_e32 v67, 0xbf08b237, v67
	v_mul_f32_e32 v96, 0x3d64c772, v66
	;; [unrolled: 1-line block ×3, first 2 shown]
	v_add_f32_e32 v73, v168, v73
	v_sub_f32_e32 v170, v68, v77
	v_sub_f32_e32 v171, v168, v72
	;; [unrolled: 1-line block ×3, first 2 shown]
	v_fmamk_f32 v66, v66, 0x3d64c772, v81
	v_fmamk_f32 v63, v63, 0xbf955555, v56
	v_fmamk_f32 v84, v88, 0x3eae86e6, v67
	v_fma_f32 v96, 0x3f3bfb3b, v65, -v96
	v_fma_f32 v65, 0xbf3bfb3b, v65, -v81
	;; [unrolled: 1-line block ×4, first 2 shown]
	v_add_f32_e32 v172, v87, v73
	v_sub_f32_e32 v173, v72, v167
	v_add_f32_e32 v72, v169, v69
	v_mul_f32_e32 v74, 0x3d64c772, v171
	v_sub_f32_e32 v174, v69, v170
	v_mul_f32_e32 v175, 0xbf08b237, v68
	v_add_f32_e32 v66, v66, v63
	v_fmac_f32_e32 v84, 0x3ee1c552, v95
	v_add_f32_e32 v65, v65, v63
	v_fmac_f32_e32 v71, 0x3ee1c552, v95
	;; [unrolled: 2-line block ×3, first 2 shown]
	v_fmamk_f32 v176, v73, 0xbf955555, v172
	v_fma_f32 v69, 0x3f3bfb3b, v173, -v74
	v_add_f32_e32 v177, v72, v170
	v_fma_f32 v72, 0x3f5ff5aa, v174, -v175
	v_add_f32_e32 v78, v84, v66
	v_add_nc_u32_e32 v178, 0x2000, v55
	v_add_f32_e32 v70, v71, v65
	v_sub_f32_e32 v68, v63, v67
	v_add_f32_e32 v63, v67, v63
	v_sub_f32_e32 v65, v65, v71
	v_add_f32_e32 v67, v69, v176
	v_fmac_f32_e32 v72, 0x3ee1c552, v177
	ds_write2_b32 v165, v64, v80 offset0:119 offset1:168
	ds_write2_b32 v178, v56, v78 offset0:10 offset1:59
	;; [unrolled: 1-line block ×4, first 2 shown]
	v_sub_f32_e32 v63, v90, v83
	v_sub_f32_e32 v64, v91, v85
	;; [unrolled: 1-line block ×5, first 2 shown]
	v_add_f32_e32 v56, v72, v67
	v_sub_f32_e32 v179, v67, v72
	ds_write_b32 v12, v63 offset:3920
	ds_write_b32 v59, v64 offset:5292
	;; [unrolled: 1-line block ×5, first 2 shown]
	s_waitcnt lgkmcnt(0)
	s_barrier
	buffer_gl0_inv
	ds_read_b32 v137, v121
	ds_read_b32 v138, v125
	;; [unrolled: 1-line block ×7, first 2 shown]
	ds_read2_b32 v[62:63], v122 offset0:87 offset1:136
	ds_read2_b32 v[64:65], v116 offset0:125 offset1:174
	;; [unrolled: 1-line block ×17, first 2 shown]
	v_add_f32_e32 v52, v104, v107
	v_add_f32_e32 v180, v105, v106
	;; [unrolled: 1-line block ×3, first 2 shown]
	v_sub_f32_e32 v145, v145, v155
	v_sub_f32_e32 v146, v147, v146
	v_sub_f32_e32 v144, v144, v156
	v_add_f32_e32 v182, v180, v52
	v_sub_f32_e32 v155, v52, v181
	v_sub_f32_e32 v156, v181, v180
	;; [unrolled: 1-line block ×3, first 2 shown]
	ds_read2_b32 v[104:105], v130 offset0:119 offset1:168
	ds_read2_b32 v[106:107], v135 offset0:163 offset1:212
	;; [unrolled: 1-line block ×3, first 2 shown]
	v_add_f32_e32 v147, v181, v182
	v_sub_f32_e32 v181, v146, v145
	v_mul_f32_e32 v155, 0x3f4a47b2, v155
	v_add_f32_e32 v182, v146, v145
	v_sub_f32_e32 v146, v144, v146
	v_add_f32_e32 v164, v164, v147
	v_mul_f32_e32 v181, 0xbf08b237, v181
	v_fmamk_f32 v183, v156, 0x3d64c772, v155
	v_add_f32_e32 v182, v182, v144
	v_sub_f32_e32 v144, v145, v144
	v_fmamk_f32 v147, v147, 0xbf955555, v164
	v_fmamk_f32 v184, v146, 0x3eae86e6, v181
	v_mul_f32_e32 v156, 0x3d64c772, v156
	ds_read2_b32 v[110:111], v100 offset0:127 offset1:176
	s_waitcnt lgkmcnt(0)
	v_add_f32_e32 v145, v183, v147
	v_fmac_f32_e32 v184, 0x3ee1c552, v182
	s_barrier
	buffer_gl0_inv
	v_mul_f32_e32 v180, 0x3f5ff5aa, v144
	ds_write2_b32 v166, v56, v179 offset0:106 offset1:155
	v_fma_f32 v56, 0xbf3bfb3b, v52, -v155
	v_sub_f32_e32 v155, v145, v184
	v_fma_f32 v52, 0x3f3bfb3b, v52, -v156
	v_sub_f32_e32 v156, v167, v168
	v_fma_f32 v146, 0xbeae86e6, v146, -v180
	v_fma_f32 v144, 0x3f5ff5aa, v144, -v181
	v_add_f32_e32 v56, v56, v147
	ds_write2_b32 v121, v164, v155 offset1:49
	v_add_f32_e32 v52, v52, v147
	v_mul_f32_e32 v147, 0x3f4a47b2, v156
	v_sub_f32_e32 v156, v170, v169
	v_mul_f32_e32 v164, 0x3f5ff5aa, v174
	v_fmac_f32_e32 v146, 0x3ee1c552, v182
	v_fmac_f32_e32 v144, 0x3ee1c552, v182
	v_fmamk_f32 v167, v171, 0x3d64c772, v147
	v_fma_f32 v147, 0xbf3bfb3b, v173, -v147
	v_fmamk_f32 v168, v156, 0x3eae86e6, v175
	v_fma_f32 v156, 0xbeae86e6, v156, -v164
	v_add_f32_e32 v14, v32, v14
	v_add_f32_e32 v16, v36, v16
	v_sub_f32_e32 v155, v56, v146
	v_add_f32_e32 v166, v144, v52
	v_sub_f32_e32 v52, v52, v144
	v_add_f32_e32 v144, v167, v176
	v_add_f32_e32 v147, v147, v176
	v_fmac_f32_e32 v168, 0x3ee1c552, v177
	v_fmac_f32_e32 v156, 0x3ee1c552, v177
	v_add_f32_e32 v56, v146, v56
	v_sub_f32_e32 v10, v31, v10
	v_add_f32_e32 v31, v33, v37
	v_sub_f32_e32 v13, v34, v13
	;; [unrolled: 2-line block ×3, first 2 shown]
	v_add_f32_e32 v145, v184, v145
	ds_write2_b32 v121, v52, v56 offset0:196 offset1:245
	v_add_f32_e32 v52, v156, v147
	v_add_f32_e32 v56, v168, v144
	;; [unrolled: 1-line block ×4, first 2 shown]
	ds_write2_b32 v121, v155, v166 offset0:98 offset1:147
	v_sub_f32_e32 v146, v144, v168
	v_sub_f32_e32 v155, v147, v156
	;; [unrolled: 1-line block ×5, first 2 shown]
	v_add_f32_e32 v31, v31, v32
	v_add_f32_e32 v32, v29, v13
	v_sub_f32_e32 v34, v29, v13
	v_sub_f32_e32 v13, v13, v10
	ds_write2_b32 v122, v145, v172 offset0:38 offset1:87
	ds_write2_b32 v122, v146, v155 offset0:136 offset1:185
	;; [unrolled: 1-line block ×3, first 2 shown]
	v_sub_f32_e32 v52, v117, v153
	v_add_f32_e32 v56, v142, v103
	v_sub_f32_e32 v93, v93, v151
	v_add_f32_e32 v103, v98, v99
	v_sub_f32_e32 v101, v101, v141
	v_sub_f32_e32 v29, v10, v29
	v_mul_f32_e32 v14, 0x3f4a47b2, v14
	v_add_f32_e32 v10, v32, v10
	v_mul_f32_e32 v32, 0x3d64c772, v16
	v_add_f32_e32 v2, v2, v31
	v_mul_f32_e32 v34, 0xbf08b237, v34
	v_mul_f32_e32 v35, 0x3f5ff5aa, v13
	v_sub_f32_e32 v117, v98, v99
	v_sub_f32_e32 v99, v99, v56
	;; [unrolled: 1-line block ×3, first 2 shown]
	v_add_f32_e32 v56, v56, v103
	v_add_f32_e32 v103, v101, v93
	v_sub_f32_e32 v141, v101, v93
	v_sub_f32_e32 v93, v93, v52
	v_fmamk_f32 v16, v16, 0x3d64c772, v14
	v_fma_f32 v32, 0x3f3bfb3b, v33, -v32
	v_fmamk_f32 v31, v31, 0xbf955555, v2
	v_fma_f32 v13, 0x3f5ff5aa, v13, -v34
	v_fma_f32 v14, 0xbf3bfb3b, v33, -v14
	;; [unrolled: 1-line block ×3, first 2 shown]
	v_fmamk_f32 v29, v29, 0x3eae86e6, v34
	v_sub_f32_e32 v101, v52, v101
	v_mul_f32_e32 v99, 0x3f4a47b2, v99
	v_add_f32_e32 v52, v103, v52
	v_mul_f32_e32 v103, 0x3d64c772, v98
	v_add_f32_e32 v142, v160, v56
	v_mul_f32_e32 v141, 0xbf08b237, v141
	v_mul_f32_e32 v144, 0x3f5ff5aa, v93
	v_add_f32_e32 v23, v46, v23
	v_add_f32_e32 v22, v48, v22
	;; [unrolled: 1-line block ×5, first 2 shown]
	v_fmac_f32_e32 v13, 0x3ee1c552, v10
	v_add_f32_e32 v16, v16, v31
	v_fmac_f32_e32 v29, 0x3ee1c552, v10
	v_add_f32_e32 v3, v7, v3
	v_add_f32_e32 v1, v30, v1
	v_fmamk_f32 v98, v98, 0x3d64c772, v99
	v_fma_f32 v103, 0x3f3bfb3b, v117, -v103
	v_fmamk_f32 v56, v56, 0xbf955555, v142
	v_fma_f32 v93, 0x3f5ff5aa, v93, -v141
	v_fma_f32 v99, 0xbf3bfb3b, v117, -v99
	;; [unrolled: 1-line block ×3, first 2 shown]
	v_fmamk_f32 v101, v101, 0x3eae86e6, v141
	v_sub_f32_e32 v45, v45, v148
	v_add_f32_e32 v48, v49, v54
	v_sub_f32_e32 v21, v47, v21
	v_add_f32_e32 v47, v22, v23
	v_sub_f32_e32 v49, v53, v51
	v_sub_f32_e32 v18, v39, v18
	v_add_f32_e32 v39, v44, v43
	v_sub_f32_e32 v17, v38, v17
	v_add_f32_e32 v38, v20, v19
	v_sub_f32_e32 v40, v42, v50
	v_fmac_f32_e32 v33, 0x3ee1c552, v10
	v_add_f32_e32 v10, v13, v32
	v_sub_f32_e32 v13, v32, v13
	v_sub_f32_e32 v32, v16, v29
	v_add_f32_e32 v7, v29, v16
	v_sub_f32_e32 v6, v6, v11
	v_add_f32_e32 v11, v26, v28
	;; [unrolled: 2-line block ×4, first 2 shown]
	v_fmac_f32_e32 v93, 0x3ee1c552, v52
	v_add_f32_e32 v99, v99, v56
	v_add_f32_e32 v56, v98, v56
	v_fmac_f32_e32 v101, 0x3ee1c552, v52
	v_sub_f32_e32 v51, v22, v23
	v_sub_f32_e32 v23, v23, v48
	v_sub_f32_e32 v22, v48, v22
	v_add_f32_e32 v47, v48, v47
	v_add_f32_e32 v48, v49, v21
	v_sub_f32_e32 v53, v49, v21
	v_sub_f32_e32 v21, v21, v45
	v_sub_f32_e32 v41, v20, v19
	v_sub_f32_e32 v19, v19, v39
	v_sub_f32_e32 v20, v39, v20
	v_add_f32_e32 v38, v39, v38
	v_add_f32_e32 v39, v40, v17
	v_sub_f32_e32 v42, v40, v17
	v_sub_f32_e32 v17, v17, v18
	;; [unrolled: 7-line block ×3, first 2 shown]
	v_fmac_f32_e32 v117, 0x3ee1c552, v52
	v_add_f32_e32 v52, v93, v103
	v_sub_f32_e32 v93, v103, v93
	v_sub_f32_e32 v103, v56, v101
	v_add_f32_e32 v46, v101, v56
	v_sub_f32_e32 v49, v45, v49
	v_mul_f32_e32 v23, 0x3f4a47b2, v23
	v_add_f32_e32 v45, v48, v45
	v_mul_f32_e32 v48, 0x3d64c772, v22
	v_add_f32_e32 v54, v158, v47
	v_mul_f32_e32 v53, 0xbf08b237, v53
	v_mul_f32_e32 v56, 0x3f5ff5aa, v21
	v_sub_f32_e32 v40, v18, v40
	v_mul_f32_e32 v19, 0x3f4a47b2, v19
	v_add_f32_e32 v18, v39, v18
	v_mul_f32_e32 v39, 0x3d64c772, v20
	v_add_f32_e32 v5, v5, v38
	v_mul_f32_e32 v42, 0xbf08b237, v42
	v_mul_f32_e32 v43, 0x3f5ff5aa, v17
	;; [unrolled: 7-line block ×3, first 2 shown]
	v_fmamk_f32 v22, v22, 0x3d64c772, v23
	v_fma_f32 v48, 0x3f3bfb3b, v51, -v48
	v_fmamk_f32 v47, v47, 0xbf955555, v54
	v_fma_f32 v21, 0x3f5ff5aa, v21, -v53
	v_fma_f32 v23, 0xbf3bfb3b, v51, -v23
	v_fma_f32 v51, 0xbeae86e6, v49, -v56
	v_fmamk_f32 v49, v49, 0x3eae86e6, v53
	v_fmamk_f32 v20, v20, 0x3d64c772, v19
	v_fma_f32 v39, 0x3f3bfb3b, v41, -v39
	v_fmamk_f32 v38, v38, 0xbf955555, v5
	v_fma_f32 v17, 0x3f5ff5aa, v17, -v42
	v_fma_f32 v19, 0xbf3bfb3b, v41, -v19
	v_fma_f32 v41, 0xbeae86e6, v40, -v43
	v_fmamk_f32 v40, v40, 0x3eae86e6, v42
	;; [unrolled: 7-line block ×3, first 2 shown]
	v_add_f32_e32 v48, v48, v47
	v_fmac_f32_e32 v21, 0x3ee1c552, v45
	v_add_f32_e32 v22, v22, v47
	v_fmac_f32_e32 v49, 0x3ee1c552, v45
	;; [unrolled: 2-line block ×6, first 2 shown]
	v_add_f32_e32 v14, v14, v31
	v_add_f32_e32 v16, v16, v11
	v_fmac_f32_e32 v4, 0x3ee1c552, v6
	v_add_f32_e32 v3, v3, v11
	v_fmac_f32_e32 v25, 0x3ee1c552, v6
	;; [unrolled: 2-line block ×3, first 2 shown]
	v_sub_f32_e32 v98, v99, v117
	v_add_f32_e32 v99, v117, v99
	v_add_f32_e32 v45, v21, v48
	v_sub_f32_e32 v21, v48, v21
	v_sub_f32_e32 v48, v22, v49
	;; [unrolled: 1-line block ×3, first 2 shown]
	v_add_f32_e32 v23, v51, v23
	v_add_f32_e32 v22, v49, v22
	;; [unrolled: 1-line block ×3, first 2 shown]
	v_sub_f32_e32 v17, v39, v17
	v_sub_f32_e32 v38, v19, v41
	v_add_f32_e32 v19, v41, v19
	v_sub_f32_e32 v39, v20, v40
	v_add_f32_e32 v20, v40, v20
	;; [unrolled: 2-line block ×3, first 2 shown]
	v_add_f32_e32 v6, v4, v16
	v_sub_f32_e32 v4, v16, v4
	v_sub_f32_e32 v11, v3, v25
	v_add_f32_e32 v3, v25, v3
	v_sub_f32_e32 v16, v1, v24
	v_add_f32_e32 v1, v24, v1
	ds_write2_b32 v15, v142, v103 offset0:174 offset1:223
	ds_write2_b32 v157, v98, v52 offset0:16 offset1:65
	ds_write2_b32 v157, v93, v99 offset0:114 offset1:163
	ds_write_b32 v12, v46 offset:3920
	ds_write2_b32 v159, v54, v48 offset0:5 offset1:54
	ds_write2_b32 v159, v47, v45 offset0:103 offset1:152
	ds_write2_b32 v159, v21, v23 offset0:201 offset1:250
	ds_write_b32 v59, v22 offset:5292
	;; [unrolled: 4-line block ×5, first 2 shown]
	s_waitcnt lgkmcnt(0)
	s_barrier
	buffer_gl0_inv
	s_and_saveexec_b32 s4, vcc_lo
	s_cbranch_execz .LBB0_15
; %bb.14:
	v_mul_i32_i24_e32 v0, 6, v114
	v_mov_b32_e32 v1, 0
	v_add_co_u32 v141, s4, s12, v92
	v_mad_u64_u32 v[92:93], null, s0, v8, 0
	v_lshlrev_b64 v[2:3], 3, v[0:1]
	v_add_co_ci_u32_e64 v142, null, s13, 0, s4
	v_lshlrev_b64 v[60:61], 3, v[60:61]
	v_add_co_u32 v0, vcc_lo, s12, v2
	v_add_co_ci_u32_e32 v5, vcc_lo, s13, v3, vcc_lo
	v_add_co_u32 v2, vcc_lo, 0x800, v0
	v_add_co_ci_u32_e32 v3, vcc_lo, 0, v5, vcc_lo
	v_add_co_u32 v4, vcc_lo, 0xa80, v0
	v_mul_i32_i24_e32 v0, 6, v115
	v_add_co_ci_u32_e32 v5, vcc_lo, 0, v5, vcc_lo
	s_clause 0x2
	global_load_dwordx4 v[24:27], v[2:3], off offset:640
	global_load_dwordx4 v[28:31], v[4:5], off offset:32
	;; [unrolled: 1-line block ×3, first 2 shown]
	v_lshlrev_b64 v[2:3], 3, v[0:1]
	v_add_co_u32 v0, vcc_lo, s12, v2
	v_add_co_ci_u32_e32 v5, vcc_lo, s13, v3, vcc_lo
	v_add_co_u32 v2, vcc_lo, 0x800, v0
	v_add_co_ci_u32_e32 v3, vcc_lo, 0, v5, vcc_lo
	v_add_co_u32 v4, vcc_lo, 0xa80, v0
	v_mul_i32_i24_e32 v0, 6, v113
	v_add_co_ci_u32_e32 v5, vcc_lo, 0, v5, vcc_lo
	s_clause 0x2
	global_load_dwordx4 v[12:15], v[2:3], off offset:640
	global_load_dwordx4 v[16:19], v[4:5], off offset:32
	;; [unrolled: 1-line block ×3, first 2 shown]
	v_lshlrev_b64 v[2:3], 3, v[0:1]
	v_add_co_u32 v0, vcc_lo, s12, v2
	v_add_co_ci_u32_e32 v5, vcc_lo, s13, v3, vcc_lo
	v_add_co_u32 v2, vcc_lo, 0x800, v0
	v_add_co_ci_u32_e32 v3, vcc_lo, 0, v5, vcc_lo
	;; [unrolled: 2-line block ×3, first 2 shown]
	s_clause 0x2
	global_load_dwordx4 v[48:51], v[2:3], off offset:640
	global_load_dwordx4 v[52:55], v[4:5], off offset:32
	;; [unrolled: 1-line block ×3, first 2 shown]
	v_mul_i32_i24_e32 v2, 0xffffffe8, v114
	v_mul_i32_i24_e32 v0, 6, v112
	v_mul_lo_u32 v4, s1, v8
	v_mul_lo_u32 v5, s0, v9
	ds_read2_b32 v[98:99], v116 offset0:125 offset1:174
	ds_read2_b32 v[155:156], v100 offset0:127 offset1:176
	;; [unrolled: 1-line block ×9, first 2 shown]
	v_add_nc_u32_e32 v6, v134, v2
	v_lshlrev_b64 v[2:3], 3, v[0:1]
	ds_read2_b32 v[116:117], v128 offset0:157 offset1:206
	ds_read2_b32 v[112:113], v136 offset0:111 offset1:160
	;; [unrolled: 1-line block ×3, first 2 shown]
	v_mul_i32_i24_e32 v0, 6, v120
	ds_read_b32 v148, v133
	ds_read_b32 v167, v132
	;; [unrolled: 1-line block ×4, first 2 shown]
	v_add3_u32 v93, v93, v5, v4
	v_add_co_u32 v6, vcc_lo, s12, v2
	v_add_co_ci_u32_e32 v7, vcc_lo, s13, v3, vcc_lo
	v_lshlrev_b64 v[4:5], 3, v[0:1]
	v_add_co_u32 v2, vcc_lo, 0xa80, v6
	v_add_co_ci_u32_e32 v3, vcc_lo, 0, v7, vcc_lo
	v_mul_i32_i24_e32 v0, 6, v119
	v_add_co_u32 v6, vcc_lo, 0x800, v6
	v_add_co_ci_u32_e32 v7, vcc_lo, 0, v7, vcc_lo
	v_add_co_u32 v4, vcc_lo, s12, v4
	v_lshlrev_b64 v[0:1], 3, v[0:1]
	v_add_co_ci_u32_e32 v5, vcc_lo, s13, v5, vcc_lo
	s_clause 0x1
	global_load_dwordx4 v[131:134], v[2:3], off offset:32
	global_load_dwordx4 v[144:147], v[2:3], off offset:16
	v_add_co_u32 v2, vcc_lo, 0xa80, v4
	v_add_co_ci_u32_e32 v3, vcc_lo, 0, v5, vcc_lo
	v_add_co_u32 v8, vcc_lo, s12, v0
	v_add_co_ci_u32_e32 v9, vcc_lo, s13, v1, vcc_lo
	;; [unrolled: 2-line block ×5, first 2 shown]
	s_clause 0x6
	global_load_dwordx4 v[36:39], v[0:1], off offset:640
	global_load_dwordx4 v[44:47], v[2:3], off offset:32
	;; [unrolled: 1-line block ×7, first 2 shown]
	v_lshlrev_b64 v[92:93], 3, v[92:93]
	s_waitcnt vmcnt(17) lgkmcnt(15)
	v_mul_f32_e32 v119, v25, v98
	s_waitcnt vmcnt(16) lgkmcnt(14)
	v_mul_f32_e32 v135, v31, v156
	;; [unrolled: 2-line block ×3, first 2 shown]
	s_waitcnt lgkmcnt(12)
	v_mul_f32_e32 v169, v33, v100
	s_waitcnt lgkmcnt(11)
	v_mul_f32_e32 v170, v27, v160
	;; [unrolled: 2-line block ×3, first 2 shown]
	v_mul_f32_e32 v156, v30, v156
	v_mul_f32_e32 v98, v24, v98
	;; [unrolled: 1-line block ×6, first 2 shown]
	v_fma_f32 v24, v64, v24, -v119
	v_fma_f32 v30, v111, v30, -v135
	;; [unrolled: 1-line block ×6, first 2 shown]
	v_fmac_f32_e32 v156, v111, v31
	v_fmac_f32_e32 v98, v64, v25
	;; [unrolled: 1-line block ×6, first 2 shown]
	s_waitcnt vmcnt(14) lgkmcnt(9)
	v_mul_f32_e32 v25, v13, v162
	s_waitcnt vmcnt(13)
	v_mul_f32_e32 v27, v19, v155
	v_mul_f32_e32 v33, v15, v159
	s_waitcnt lgkmcnt(7)
	v_mul_f32_e32 v35, v17, v166
	v_mul_f32_e32 v64, v18, v155
	;; [unrolled: 1-line block ×5, first 2 shown]
	s_waitcnt vmcnt(12)
	v_mul_f32_e32 v29, v23, v157
	v_mul_f32_e32 v31, v21, v164
	;; [unrolled: 1-line block ×4, first 2 shown]
	v_sub_f32_e32 v119, v24, v30
	v_sub_f32_e32 v135, v34, v32
	;; [unrolled: 1-line block ×3, first 2 shown]
	v_add_f32_e32 v155, v98, v156
	v_add_f32_e32 v157, v158, v100
	;; [unrolled: 1-line block ×6, first 2 shown]
	v_sub_f32_e32 v28, v98, v156
	v_sub_f32_e32 v32, v158, v100
	;; [unrolled: 1-line block ×3, first 2 shown]
	v_fma_f32 v12, v95, v12, -v25
	v_fma_f32 v18, v110, v18, -v27
	;; [unrolled: 1-line block ×4, first 2 shown]
	v_fmac_f32_e32 v64, v110, v19
	v_fmac_f32_e32 v66, v95, v13
	;; [unrolled: 1-line block ×4, first 2 shown]
	v_fma_f32 v22, v108, v22, -v29
	v_fma_f32 v20, v97, v20, -v31
	v_fmac_f32_e32 v70, v97, v21
	v_fmac_f32_e32 v107, v108, v23
	s_waitcnt vmcnt(11)
	v_mul_f32_e32 v13, v49, v161
	s_waitcnt vmcnt(10) lgkmcnt(6)
	v_mul_f32_e32 v15, v55, v117
	s_waitcnt vmcnt(9) lgkmcnt(5)
	v_mul_f32_e32 v17, v59, v113
	v_mul_f32_e32 v19, v57, v163
	s_waitcnt lgkmcnt(4)
	v_mul_f32_e32 v21, v51, v115
	v_mul_f32_e32 v23, v53, v165
	;; [unrolled: 1-line block ×7, first 2 shown]
	v_sub_f32_e32 v25, v119, v135
	v_sub_f32_e32 v27, v135, v136
	v_add_f32_e32 v29, v135, v136
	v_sub_f32_e32 v31, v155, v157
	v_sub_f32_e32 v33, v157, v159
	v_add_f32_e32 v35, v155, v159
	;; [unrolled: 3-line block ×4, first 2 shown]
	v_sub_f32_e32 v135, v159, v155
	v_sub_f32_e32 v24, v26, v24
	;; [unrolled: 1-line block ×5, first 2 shown]
	v_add_f32_e32 v156, v66, v64
	v_add_f32_e32 v159, v111, v109
	;; [unrolled: 1-line block ×4, first 2 shown]
	v_mul_f32_e32 v98, v56, v163
	v_sub_f32_e32 v117, v136, v119
	v_sub_f32_e32 v136, v22, v20
	v_add_f32_e32 v158, v107, v70
	v_add_f32_e32 v18, v22, v20
	v_sub_f32_e32 v16, v66, v64
	v_sub_f32_e32 v20, v107, v70
	;; [unrolled: 1-line block ×3, first 2 shown]
	v_fma_f32 v13, v94, v48, -v13
	v_fma_f32 v15, v91, v54, -v15
	;; [unrolled: 1-line block ×6, first 2 shown]
	v_fmac_f32_e32 v95, v91, v55
	v_fmac_f32_e32 v97, v94, v49
	v_fmac_f32_e32 v102, v104, v53
	v_fmac_f32_e32 v105, v89, v51
	v_add_f32_e32 v35, v157, v35
	v_mul_f32_e32 v49, 0x3f4a47b2, v106
	v_mul_f32_e32 v50, 0x3d64c772, v108
	v_add_f32_e32 v30, v30, v110
	v_add_f32_e32 v58, v156, v159
	;; [unrolled: 1-line block ×3, first 2 shown]
	v_fmac_f32_e32 v98, v96, v57
	v_fmac_f32_e32 v100, v87, v59
	v_mul_f32_e32 v27, 0xbf08b237, v27
	v_mul_f32_e32 v48, 0x3f4a47b2, v31
	;; [unrolled: 1-line block ×4, first 2 shown]
	v_add_f32_e32 v28, v28, v32
	v_mul_f32_e32 v32, 0x3f5ff5aa, v117
	v_mul_f32_e32 v52, 0x3f5ff5aa, v26
	v_sub_f32_e32 v54, v136, v155
	v_add_f32_e32 v55, v136, v155
	v_sub_f32_e32 v56, v156, v158
	v_sub_f32_e32 v57, v158, v159
	;; [unrolled: 1-line block ×6, first 2 shown]
	v_add_f32_e32 v89, v20, v22
	v_sub_f32_e32 v91, v155, v34
	v_sub_f32_e32 v12, v14, v12
	v_sub_f32_e32 v14, v22, v16
	v_sub_f32_e32 v96, v13, v15
	v_sub_f32_e32 v22, v17, v19
	v_sub_f32_e32 v104, v21, v23
	v_add_f32_e32 v107, v97, v95
	v_add_f32_e32 v109, v105, v102
	;; [unrolled: 1-line block ×5, first 2 shown]
	s_waitcnt lgkmcnt(0)
	v_add_f32_e32 v21, v168, v35
	v_fmamk_f32 v15, v106, 0x3f4a47b2, v50
	v_add_f32_e32 v20, v154, v30
	v_fma_f32 v19, 0xbf3bfb3b, v24, -v49
	v_fma_f32 v24, 0x3f3bfb3b, v24, -v50
	v_add_f32_e32 v50, v158, v58
	v_add_f32_e32 v18, v18, v66
	;; [unrolled: 1-line block ×3, first 2 shown]
	v_sub_f32_e32 v53, v34, v136
	v_sub_f32_e32 v94, v159, v156
	v_add_f32_e32 v108, v100, v98
	v_fmamk_f32 v119, v25, 0x3eae86e6, v27
	v_fmamk_f32 v13, v31, 0x3f4a47b2, v33
	;; [unrolled: 1-line block ×3, first 2 shown]
	v_fma_f32 v23, 0xbeae86e6, v25, -v32
	v_fma_f32 v17, 0xbf3bfb3b, v135, -v48
	v_fma_f32 v25, 0xbeae86e6, v113, -v52
	v_fma_f32 v32, 0x3f3bfb3b, v135, -v33
	v_fma_f32 v27, 0x3f5ff5aa, v117, -v27
	v_fma_f32 v26, 0x3f5ff5aa, v26, -v51
	v_mul_f32_e32 v33, 0xbf08b237, v54
	v_add_f32_e32 v34, v34, v55
	v_mul_f32_e32 v48, 0x3f4a47b2, v56
	v_mul_f32_e32 v49, 0x3d64c772, v57
	;; [unrolled: 1-line block ×5, first 2 shown]
	v_add_f32_e32 v16, v16, v89
	v_mul_f32_e32 v55, 0x3f5ff5aa, v91
	v_mul_f32_e32 v57, 0x3f5ff5aa, v14
	v_sub_f32_e32 v58, v96, v22
	v_sub_f32_e32 v64, v22, v104
	v_add_f32_e32 v22, v22, v104
	v_add_f32_e32 v89, v107, v109
	v_fmamk_f32 v35, v35, 0xbf955555, v21
	v_fmamk_f32 v113, v30, 0xbf955555, v20
	v_add_f32_e32 v31, v148, v50
	v_add_f32_e32 v30, v149, v18
	v_sub_f32_e32 v66, v107, v108
	v_sub_f32_e32 v87, v108, v109
	v_fmac_f32_e32 v119, 0x3ee1c552, v29
	v_fmac_f32_e32 v106, 0x3ee1c552, v28
	;; [unrolled: 1-line block ×6, first 2 shown]
	v_fmamk_f32 v117, v53, 0x3eae86e6, v33
	v_fmamk_f32 v28, v56, 0x3f4a47b2, v49
	;; [unrolled: 1-line block ×4, first 2 shown]
	v_fma_f32 v53, 0xbeae86e6, v53, -v55
	v_fma_f32 v48, 0xbf3bfb3b, v94, -v48
	;; [unrolled: 1-line block ×8, first 2 shown]
	v_add_f32_e32 v70, v96, v22
	v_add_f32_e32 v89, v108, v89
	;; [unrolled: 1-line block ×6, first 2 shown]
	v_fmamk_f32 v32, v50, 0xbf955555, v31
	v_fmamk_f32 v35, v18, 0xbf955555, v30
	v_fmac_f32_e32 v117, 0x3ee1c552, v34
	v_fmac_f32_e32 v53, 0x3ee1c552, v34
	;; [unrolled: 1-line block ×5, first 2 shown]
	v_add_f32_e32 v48, v48, v32
	v_add_f32_e32 v51, v51, v35
	;; [unrolled: 1-line block ×7, first 2 shown]
	v_sub_f32_e32 v14, v108, v25
	v_sub_f32_e32 v23, v22, v23
	v_add_f32_e32 v22, v25, v108
	v_sub_f32_e32 v25, v91, v119
	v_add_f32_e32 v50, v28, v32
	v_add_f32_e32 v91, v29, v35
	;; [unrolled: 1-line block ×3, first 2 shown]
	v_sub_f32_e32 v28, v51, v55
	v_sub_f32_e32 v33, v34, v59
	v_add_f32_e32 v32, v54, v49
	v_add_f32_e32 v35, v59, v34
	v_sub_f32_e32 v34, v49, v54
	v_sub_f32_e32 v49, v48, v53
	v_add_f32_e32 v48, v55, v51
	v_sub_f32_e32 v55, v100, v98
	v_sub_f32_e32 v59, v105, v102
	v_sub_f32_e32 v95, v97, v95
	v_add_f32_e32 v54, v110, v115
	v_sub_f32_e32 v96, v104, v96
	v_mul_f32_e32 v64, 0xbf08b237, v64
	v_sub_f32_e32 v97, v55, v59
	v_sub_f32_e32 v100, v95, v55
	v_add_f32_e32 v55, v55, v59
	v_add_f32_e32 v24, v24, v113
	v_fmac_f32_e32 v56, 0x3ee1c552, v16
	v_sub_f32_e32 v53, v111, v115
	v_add_f32_e32 v54, v111, v54
	v_add_f32_e32 v104, v95, v55
	v_mul_f32_e32 v55, 0x3f5ff5aa, v96
	v_fmamk_f32 v113, v58, 0x3eae86e6, v64
	v_sub_f32_e32 v12, v94, v106
	v_sub_f32_e32 v17, v19, v27
	v_add_f32_e32 v16, v26, v24
	v_add_f32_e32 v19, v27, v19
	v_sub_f32_e32 v18, v24, v26
	v_add_f32_e32 v24, v106, v94
	v_add_f32_e32 v27, v117, v50
	v_sub_f32_e32 v26, v91, v56
	v_sub_f32_e32 v51, v50, v117
	v_add_f32_e32 v50, v56, v91
	v_sub_f32_e32 v91, v110, v111
	v_mul_f32_e32 v94, 0x3d64c772, v53
	v_add_f32_e32 v56, v143, v54
	v_mul_f32_e32 v97, 0xbf08b237, v97
	v_sub_f32_e32 v59, v59, v95
	v_fma_f32 v106, 0xbeae86e6, v58, -v55
	v_fma_f32 v64, 0x3f5ff5aa, v96, -v64
	v_add_co_u32 v96, vcc_lo, 0x800, v141
	v_fmac_f32_e32 v113, 0x3ee1c552, v70
	v_fmamk_f32 v98, v91, 0x3f4a47b2, v94
	v_fmamk_f32 v102, v54, 0xbf955555, v56
	v_mul_f32_e32 v54, 0x3f4a47b2, v91
	v_fmamk_f32 v91, v100, 0x3eae86e6, v97
	v_fmac_f32_e32 v106, 0x3ee1c552, v70
	v_fmac_f32_e32 v64, 0x3ee1c552, v70
	v_fma_f32 v70, 0x3f5ff5aa, v59, -v97
	v_add_co_ci_u32_e32 v97, vcc_lo, 0, v142, vcc_lo
	v_sub_f32_e32 v55, v115, v110
	ds_read2_b32 v[110:111], v122 offset0:185 offset1:234
	ds_read2_b32 v[135:136], v123 offset0:103 offset1:152
	ds_read2_b32 v[148:149], v130 offset0:21 offset1:70
	global_load_dwordx4 v[154:157], v[96:97], off offset:640
	v_add_co_u32 v96, vcc_lo, 0xa80, v141
	v_add_co_ci_u32_e32 v97, vcc_lo, 0, v142, vcc_lo
	s_clause 0x1
	global_load_dwordx4 v[158:161], v[96:97], off offset:32
	global_load_dwordx4 v[162:165], v[96:97], off offset:16
	v_mul_f32_e32 v52, 0x3f4a47b2, v66
	v_add_f32_e32 v57, v167, v89
	v_sub_f32_e32 v105, v109, v107
	v_mul_f32_e32 v87, 0x3d64c772, v87
	v_mul_f32_e32 v95, 0x3f5ff5aa, v59
	v_fmac_f32_e32 v70, 0x3ee1c552, v104
	v_fmamk_f32 v89, v89, 0xbf955555, v57
	v_fma_f32 v58, 0xbf3bfb3b, v105, -v52
	v_fmamk_f32 v66, v66, 0x3f4a47b2, v87
	v_fma_f32 v54, 0xbf3bfb3b, v55, -v54
	v_fma_f32 v100, 0xbeae86e6, v100, -v95
	s_waitcnt vmcnt(7)
	v_mul_f32_e32 v97, v153, v114
	v_add_f32_e32 v107, v58, v89
	v_fma_f32 v58, 0x3f3bfb3b, v105, -v87
	v_add_f32_e32 v66, v66, v89
	v_mul_f32_e32 v114, v152, v114
	s_waitcnt lgkmcnt(1)
	v_mul_f32_e32 v96, v145, v136
	v_add_f32_e32 v105, v54, v102
	v_add_f32_e32 v87, v58, v89
	v_fma_f32 v58, 0x3f3bfb3b, v55, -v94
	v_add_f32_e32 v55, v106, v107
	v_fmac_f32_e32 v114, v88, v153
	v_fmac_f32_e32 v100, 0x3ee1c552, v104
	v_sub_f32_e32 v59, v87, v64
	v_add_f32_e32 v89, v58, v102
	v_add_f32_e32 v95, v64, v87
	v_sub_f32_e32 v87, v107, v106
	v_mul_f32_e32 v106, v133, v116
	v_mul_f32_e32 v64, v151, v111
	v_add_f32_e32 v58, v70, v89
	v_sub_f32_e32 v94, v89, v70
	v_mul_f32_e32 v70, v134, v116
	v_mul_f32_e32 v111, v150, v111
	v_fmac_f32_e32 v106, v90, v134
	v_fma_f32 v64, v85, v150, -v64
	v_mul_f32_e32 v89, v147, v112
	v_fma_f32 v70, v90, v133, -v70
	s_waitcnt lgkmcnt(0)
	v_mul_f32_e32 v90, v131, v149
	v_fmac_f32_e32 v111, v85, v151
	v_mul_f32_e32 v85, v144, v136
	v_mul_f32_e32 v112, v146, v112
	v_fma_f32 v96, v81, v144, -v96
	v_fmac_f32_e32 v90, v83, v132
	v_add_f32_e32 v98, v98, v102
	v_fmac_f32_e32 v85, v81, v145
	v_fmac_f32_e32 v112, v86, v147
	v_add_f32_e32 v81, v111, v106
	v_add_f32_e32 v116, v114, v90
	v_fmac_f32_e32 v91, 0x3ee1c552, v104
	v_sub_f32_e32 v54, v105, v100
	v_mul_f32_e32 v102, v132, v149
	v_fma_f32 v104, v86, v146, -v89
	v_add_f32_e32 v86, v100, v105
	v_add_f32_e32 v105, v112, v85
	;; [unrolled: 1-line block ×3, first 2 shown]
	v_sub_f32_e32 v52, v98, v91
	v_fma_f32 v97, v88, v152, -v97
	v_fma_f32 v102, v83, v131, -v102
	v_add_f32_e32 v88, v91, v98
	v_add_f32_e32 v91, v105, v109
	;; [unrolled: 1-line block ×3, first 2 shown]
	v_sub_f32_e32 v107, v64, v70
	v_sub_f32_e32 v89, v66, v113
	;; [unrolled: 1-line block ×3, first 2 shown]
	v_add_f32_e32 v109, v120, v91
	v_add_f32_e32 v64, v64, v70
	;; [unrolled: 1-line block ×3, first 2 shown]
	v_sub_f32_e32 v108, v104, v96
	v_sub_f32_e32 v115, v97, v102
	;; [unrolled: 1-line block ×3, first 2 shown]
	v_mul_f32_e32 v66, 0x3d64c772, v66
	v_fmamk_f32 v119, v91, 0xbf955555, v109
	v_add_f32_e32 v91, v104, v96
	v_add_f32_e32 v96, v64, v70
	v_sub_f32_e32 v85, v112, v85
	v_sub_f32_e32 v90, v114, v90
	;; [unrolled: 1-line block ×4, first 2 shown]
	v_add_f32_e32 v108, v108, v115
	v_fmamk_f32 v102, v105, 0x3f4a47b2, v66
	v_mul_f32_e32 v104, 0x3f4a47b2, v105
	v_sub_f32_e32 v105, v91, v70
	v_add_f32_e32 v96, v91, v96
	v_sub_f32_e32 v112, v64, v91
	v_sub_f32_e32 v106, v111, v106
	;; [unrolled: 1-line block ×3, first 2 shown]
	v_add_f32_e32 v97, v107, v108
	v_mul_f32_e32 v105, 0x3d64c772, v105
	v_add_f32_e32 v108, v140, v96
	v_sub_f32_e32 v114, v106, v85
	v_mul_f32_e32 v120, 0xbf08b237, v111
	v_add_f32_e32 v85, v85, v90
	v_sub_f32_e32 v107, v115, v107
	v_mul_f32_e32 v111, 0x3f4a47b2, v112
	v_sub_f32_e32 v64, v70, v64
	v_sub_f32_e32 v70, v90, v106
	v_mul_f32_e32 v83, 0xbf08b237, v83
	v_fmamk_f32 v113, v112, 0x3f4a47b2, v105
	v_fmamk_f32 v96, v96, 0xbf955555, v108
	v_add_f32_e32 v85, v106, v85
	v_mul_f32_e32 v112, 0x3f5ff5aa, v107
	v_fma_f32 v106, 0xbf3bfb3b, v64, -v111
	v_mul_f32_e32 v111, 0x3f5ff5aa, v70
	v_fmamk_f32 v98, v100, 0x3eae86e6, v83
	ds_read_b32 v117, v129
	v_add_f32_e32 v129, v113, v96
	v_fmamk_f32 v130, v114, 0x3eae86e6, v120
	v_sub_f32_e32 v81, v116, v81
	v_fma_f32 v100, 0xbeae86e6, v100, -v112
	v_fma_f32 v133, 0xbeae86e6, v114, -v111
	ds_read2_b32 v[111:112], v128 offset0:59 offset1:108
	ds_read2_b32 v[113:114], v126 offset0:141 offset1:190
	;; [unrolled: 1-line block ×3, first 2 shown]
	v_fma_f32 v104, 0xbf3bfb3b, v81, -v104
	v_fma_f32 v66, 0x3f3bfb3b, v81, -v66
	;; [unrolled: 1-line block ×3, first 2 shown]
	v_fmac_f32_e32 v100, 0x3ee1c552, v97
	v_fma_f32 v70, 0x3f5ff5aa, v70, -v120
	v_add_f32_e32 v131, v104, v119
	v_fma_f32 v64, 0x3f3bfb3b, v64, -v105
	v_add_f32_e32 v66, v66, v119
	v_fmac_f32_e32 v81, 0x3ee1c552, v97
	v_fmac_f32_e32 v98, 0x3ee1c552, v97
	;; [unrolled: 1-line block ×5, first 2 shown]
	v_add_f32_e32 v64, v64, v96
	v_add_f32_e32 v97, v100, v131
	v_sub_f32_e32 v105, v66, v81
	v_mul_f32_e32 v83, v37, v110
	v_add_f32_e32 v107, v81, v66
	v_sub_f32_e32 v81, v131, v100
	s_waitcnt lgkmcnt(2)
	v_mul_f32_e32 v66, v47, v112
	s_waitcnt lgkmcnt(0)
	v_mul_f32_e32 v85, v39, v116
	v_mul_f32_e32 v100, v45, v148
	v_add_f32_e32 v132, v106, v96
	v_add_f32_e32 v104, v70, v64
	v_sub_f32_e32 v106, v64, v70
	v_fma_f32 v64, v84, v36, -v83
	s_waitcnt vmcnt(6)
	v_mul_f32_e32 v70, v43, v114
	v_mul_f32_e32 v83, v41, v135
	v_fma_f32 v66, v79, v46, -v66
	v_fma_f32 v85, v77, v38, -v85
	;; [unrolled: 1-line block ×3, first 2 shown]
	v_mul_f32_e32 v46, v46, v112
	v_mul_f32_e32 v110, v36, v110
	;; [unrolled: 1-line block ×4, first 2 shown]
	v_add_f32_e32 v102, v102, v119
	v_fma_f32 v70, v75, v42, -v70
	v_fma_f32 v119, v80, v40, -v83
	v_fmac_f32_e32 v46, v79, v47
	v_fmac_f32_e32 v110, v84, v37
	v_mul_f32_e32 v40, v40, v135
	v_mul_f32_e32 v42, v42, v114
	v_fmac_f32_e32 v44, v82, v45
	v_fmac_f32_e32 v38, v77, v39
	v_sub_f32_e32 v112, v64, v66
	v_fmac_f32_e32 v40, v80, v41
	v_fmac_f32_e32 v42, v75, v43
	v_add_f32_e32 v41, v110, v46
	v_add_f32_e32 v43, v38, v44
	v_sub_f32_e32 v83, v70, v119
	v_sub_f32_e32 v120, v85, v100
	v_add_f32_e32 v39, v42, v40
	v_add_f32_e32 v64, v64, v66
	;; [unrolled: 1-line block ×4, first 2 shown]
	v_sub_f32_e32 v36, v83, v120
	v_sub_f32_e32 v77, v39, v43
	;; [unrolled: 1-line block ×3, first 2 shown]
	v_add_f32_e32 v75, v39, v75
	v_add_f32_e32 v82, v83, v120
	v_sub_f32_e32 v39, v41, v39
	v_mul_f32_e32 v77, 0x3d64c772, v77
	v_add_f32_e32 v70, v70, v119
	v_add_f32_e32 v83, v117, v75
	;; [unrolled: 1-line block ×4, first 2 shown]
	v_fmamk_f32 v82, v39, 0x3f4a47b2, v77
	v_add_f32_e32 v91, v98, v102
	v_fmamk_f32 v75, v75, 0xbf955555, v83
	v_add_f32_e32 v84, v70, v84
	v_sub_f32_e32 v37, v102, v98
	v_sub_f32_e32 v40, v42, v40
	;; [unrolled: 1-line block ×3, first 2 shown]
	v_add_f32_e32 v102, v82, v75
	v_add_f32_e32 v82, v139, v84
	v_sub_f32_e32 v46, v110, v46
	v_sub_f32_e32 v112, v120, v112
	v_mul_f32_e32 v47, 0xbf08b237, v36
	v_mul_f32_e32 v85, 0x3f4a47b2, v39
	v_sub_f32_e32 v39, v70, v66
	v_sub_f32_e32 v42, v64, v70
	;; [unrolled: 1-line block ×3, first 2 shown]
	v_fmamk_f32 v114, v84, 0xbf955555, v82
	v_sub_f32_e32 v116, v46, v40
	v_add_f32_e32 v40, v40, v38
	v_mul_f32_e32 v84, 0x3f5ff5aa, v112
	v_sub_f32_e32 v41, v43, v41
	v_fmamk_f32 v79, v45, 0x3eae86e6, v47
	v_mul_f32_e32 v44, 0x3d64c772, v39
	v_add_f32_e32 v40, v46, v40
	v_sub_f32_e32 v43, v66, v64
	v_sub_f32_e32 v46, v38, v46
	v_fma_f32 v64, 0xbeae86e6, v45, -v84
	v_fma_f32 v45, 0xbf3bfb3b, v41, -v85
	ds_read2_b32 v[84:85], v122 offset0:87 offset1:136
	v_fma_f32 v41, 0x3f3bfb3b, v41, -v77
	s_waitcnt vmcnt(5)
	v_mul_f32_e32 v77, v7, v115
	v_fmamk_f32 v110, v42, 0x3f4a47b2, v44
	v_mul_f32_e32 v70, 0xbf08b237, v70
	v_mul_f32_e32 v42, 0x3f4a47b2, v42
	;; [unrolled: 1-line block ×3, first 2 shown]
	ds_read2_b32 v[119:120], v124 offset0:179 offset1:228
	v_fma_f32 v77, v76, v6, -v77
	v_mul_f32_e32 v6, v6, v115
	ds_read_b32 v98, v125
	v_fma_f32 v42, 0xbf3bfb3b, v43, -v42
	v_fma_f32 v66, 0xbeae86e6, v116, -v66
	v_add_f32_e32 v122, v45, v75
	v_fmac_f32_e32 v6, v76, v7
	ds_read_b32 v76, v121
	v_fmamk_f32 v125, v116, 0x3eae86e6, v70
	ds_read2_b32 v[116:117], v123 offset0:5 offset1:54
	v_add_f32_e32 v126, v42, v114
	v_fma_f32 v45, 0x3f5ff5aa, v112, -v47
	v_fma_f32 v46, 0x3f5ff5aa, v46, -v70
	v_fma_f32 v42, 0x3f3bfb3b, v43, -v44
	v_fmac_f32_e32 v64, 0x3ee1c552, v100
	v_add_f32_e32 v44, v41, v75
	v_fmac_f32_e32 v45, 0x3ee1c552, v100
	v_fmac_f32_e32 v46, 0x3ee1c552, v40
	v_add_f32_e32 v47, v42, v114
	s_waitcnt lgkmcnt(4)
	v_mul_f32_e32 v70, v5, v85
	v_fmac_f32_e32 v79, 0x3ee1c552, v100
	v_add_f32_e32 v41, v64, v122
	v_sub_f32_e32 v43, v44, v45
	v_add_f32_e32 v42, v46, v47
	v_add_f32_e32 v45, v45, v44
	v_sub_f32_e32 v44, v47, v46
	v_sub_f32_e32 v47, v122, v64
	v_fma_f32 v64, v63, v4, -v70
	s_waitcnt vmcnt(4)
	v_mul_f32_e32 v46, v11, v111
	s_waitcnt vmcnt(3)
	v_mul_f32_e32 v70, v3, v113
	s_waitcnt lgkmcnt(3)
	v_mul_f32_e32 v100, v9, v120
	v_mul_f32_e32 v85, v4, v85
	;; [unrolled: 1-line block ×3, first 2 shown]
	v_fma_f32 v112, v78, v10, -v46
	v_fma_f32 v70, v74, v2, -v70
	;; [unrolled: 1-line block ×3, first 2 shown]
	v_mul_f32_e32 v10, v10, v111
	s_waitcnt lgkmcnt(0)
	v_mul_f32_e32 v8, v0, v117
	v_mul_f32_e32 v2, v2, v113
	v_fmac_f32_e32 v85, v63, v5
	v_fmac_f32_e32 v4, v73, v9
	;; [unrolled: 1-line block ×6, first 2 shown]
	v_mul_f32_e32 v75, v1, v117
	v_add_f32_e32 v7, v85, v10
	v_add_f32_e32 v9, v6, v4
	;; [unrolled: 1-line block ×3, first 2 shown]
	v_fmac_f32_e32 v125, 0x3ee1c552, v40
	v_sub_f32_e32 v40, v126, v66
	v_fma_f32 v75, v69, v0, -v75
	v_add_f32_e32 v46, v66, v126
	v_add_f32_e32 v5, v7, v9
	v_sub_f32_e32 v66, v3, v9
	v_add_f32_e32 v110, v110, v114
	v_sub_f32_e32 v111, v64, v112
	v_sub_f32_e32 v114, v70, v75
	;; [unrolled: 1-line block ×3, first 2 shown]
	v_add_f32_e32 v69, v3, v5
	v_sub_f32_e32 v3, v7, v3
	v_mul_f32_e32 v66, 0x3d64c772, v66
	v_add_f32_e32 v64, v64, v112
	v_add_f32_e32 v77, v77, v100
	;; [unrolled: 1-line block ×4, first 2 shown]
	v_sub_f32_e32 v1, v102, v79
	v_fmamk_f32 v78, v3, 0x3f4a47b2, v66
	v_add_f32_e32 v75, v64, v77
	v_mul_f32_e32 v79, 0x3f4a47b2, v3
	v_sub_f32_e32 v3, v70, v77
	v_sub_f32_e32 v2, v2, v8
	;; [unrolled: 1-line block ×3, first 2 shown]
	v_add_f32_e32 v75, v70, v75
	v_sub_f32_e32 v8, v64, v70
	v_mul_f32_e32 v70, 0x3d64c772, v3
	v_sub_f32_e32 v10, v85, v10
	v_sub_f32_e32 v0, v114, v122
	v_add_f32_e32 v74, v114, v122
	v_add_f32_e32 v5, v98, v69
	;; [unrolled: 1-line block ×3, first 2 shown]
	v_sub_f32_e32 v85, v2, v6
	v_fmamk_f32 v98, v8, 0x3f4a47b2, v70
	v_sub_f32_e32 v100, v10, v2
	v_add_f32_e32 v2, v2, v6
	v_sub_f32_e32 v102, v122, v111
	v_mul_f32_e32 v8, 0x3f4a47b2, v8
	v_sub_f32_e32 v7, v9, v7
	v_sub_f32_e32 v9, v77, v64
	;; [unrolled: 1-line block ×3, first 2 shown]
	v_mul_f32_e32 v63, 0xbf08b237, v0
	v_add_f32_e32 v74, v111, v74
	v_fmamk_f32 v75, v75, 0xbf955555, v4
	v_mul_f32_e32 v85, 0xbf08b237, v85
	v_add_f32_e32 v111, v10, v2
	v_mul_f32_e32 v2, 0x3f5ff5aa, v102
	v_sub_f32_e32 v6, v6, v10
	v_fma_f32 v8, 0xbf3bfb3b, v9, -v8
	v_fmamk_f32 v73, v11, 0x3eae86e6, v63
	v_fmamk_f32 v69, v69, 0xbf955555, v5
	v_fma_f32 v77, 0xbeae86e6, v11, -v2
	v_fma_f32 v10, 0xbf3bfb3b, v7, -v79
	v_mul_f32_e32 v11, 0x3f5ff5aa, v6
	v_add_f32_e32 v112, v8, v75
	v_fma_f32 v7, 0x3f3bfb3b, v7, -v66
	v_fma_f32 v63, 0x3f5ff5aa, v102, -v63
	;; [unrolled: 1-line block ×4, first 2 shown]
	v_sub_f32_e32 v38, v110, v125
	v_add_f32_e32 v0, v125, v110
	v_add_f32_e32 v78, v78, v69
	v_fmamk_f32 v110, v100, 0x3eae86e6, v85
	v_add_f32_e32 v79, v10, v69
	v_fma_f32 v100, 0xbeae86e6, v100, -v11
	v_add_f32_e32 v7, v7, v69
	v_fmac_f32_e32 v63, 0x3ee1c552, v74
	v_fmac_f32_e32 v6, 0x3ee1c552, v111
	v_add_f32_e32 v66, v8, v75
	s_waitcnt vmcnt(2)
	v_mul_f32_e32 v69, v155, v84
	v_fmac_f32_e32 v100, 0x3ee1c552, v111
	v_sub_f32_e32 v11, v7, v63
	v_add_f32_e32 v64, v63, v7
	v_add_f32_e32 v10, v6, v66
	v_sub_f32_e32 v63, v66, v6
	v_fma_f32 v6, v62, v154, -v69
	s_waitcnt vmcnt(0)
	v_mul_f32_e32 v69, v163, v116
	v_fmac_f32_e32 v110, 0x3ee1c552, v111
	v_sub_f32_e32 v8, v112, v100
	v_mul_f32_e32 v66, v165, v101
	v_mul_f32_e32 v70, v157, v99
	v_fma_f32 v85, v68, v162, -v69
	v_add_f32_e32 v69, v100, v112
	v_mul_f32_e32 v111, v162, v116
	v_mul_f32_e32 v101, v164, v101
	;; [unrolled: 1-line block ×4, first 2 shown]
	v_fmac_f32_e32 v73, 0x3ee1c552, v74
	v_fmac_f32_e32 v77, 0x3ee1c552, v74
	v_mul_f32_e32 v74, v159, v119
	v_mul_f32_e32 v7, v161, v103
	v_mul_f32_e32 v103, v160, v103
	v_mul_f32_e32 v84, v154, v84
	v_fmac_f32_e32 v111, v68, v163
	v_fmac_f32_e32 v101, v71, v165
	;; [unrolled: 1-line block ×4, first 2 shown]
	v_add_f32_e32 v98, v98, v75
	v_fma_f32 v75, v71, v164, -v66
	v_fma_f32 v102, v65, v156, -v70
	;; [unrolled: 1-line block ×3, first 2 shown]
	v_fmac_f32_e32 v103, v67, v161
	v_fmac_f32_e32 v84, v62, v155
	v_add_f32_e32 v62, v101, v111
	v_add_f32_e32 v113, v99, v112
	;; [unrolled: 1-line block ×3, first 2 shown]
	v_fma_f32 v7, v67, v160, -v7
	v_sub_f32_e32 v70, v79, v77
	v_sub_f32_e32 v79, v75, v85
	;; [unrolled: 1-line block ×3, first 2 shown]
	v_add_f32_e32 v3, v73, v78
	v_sub_f32_e32 v66, v78, v73
	v_add_f32_e32 v73, v84, v103
	v_sub_f32_e32 v67, v62, v113
	v_sub_f32_e32 v77, v6, v7
	v_add_f32_e32 v68, v79, v100
	v_sub_f32_e32 v65, v79, v100
	v_add_f32_e32 v6, v6, v7
	v_mul_f32_e32 v78, 0x3d64c772, v67
	v_add_f32_e32 v67, v73, v113
	v_sub_f32_e32 v114, v77, v79
	v_add_f32_e32 v7, v102, v74
	v_add_f32_e32 v74, v77, v68
	v_sub_f32_e32 v77, v100, v77
	v_mul_hi_u32 v100, 0xbf112a8b, v118
	v_sub_f32_e32 v71, v73, v62
	v_add_f32_e32 v62, v62, v67
	v_add_f32_e32 v67, v75, v85
	;; [unrolled: 1-line block ×3, first 2 shown]
	v_sub_f32_e32 v79, v101, v111
	v_sub_f32_e32 v85, v99, v112
	v_add_f32_e32 v68, v76, v62
	v_sub_f32_e32 v76, v67, v7
	v_sub_f32_e32 v84, v84, v103
	;; [unrolled: 1-line block ×4, first 2 shown]
	v_lshrrev_b32_e32 v7, 8, v100
	v_sub_f32_e32 v99, v79, v85
	v_sub_f32_e32 v101, v6, v67
	v_mul_f32_e32 v76, 0x3d64c772, v76
	v_sub_f32_e32 v102, v84, v79
	v_add_f32_e32 v79, v79, v85
	v_mul_f32_e32 v116, 0x3f5ff5aa, v77
	v_mul_u32_u24_e32 v7, 0x157, v7
	v_add_f32_e32 v75, v67, v75
	v_mul_f32_e32 v99, 0xbf08b237, v99
	v_fmamk_f32 v103, v101, 0x3f4a47b2, v76
	v_add_f32_e32 v79, v84, v79
	v_mul_f32_e32 v101, 0x3f4a47b2, v101
	v_sub_f32_e32 v6, v85, v84
	v_fma_f32 v84, 0xbeae86e6, v114, -v116
	v_sub_nc_u32_e32 v116, v118, v7
	v_sub_f32_e32 v2, v98, v110
	v_mul_f32_e32 v115, 0xbf08b237, v65
	v_add_f32_e32 v65, v110, v98
	v_add_f32_e32 v67, v137, v75
	v_fmamk_f32 v110, v102, 0x3eae86e6, v99
	v_fma_f32 v100, 0xbf3bfb3b, v113, -v101
	v_mul_f32_e32 v101, 0x3f5ff5aa, v6
	v_fma_f32 v99, 0x3f5ff5aa, v6, -v99
	v_mad_u64_u32 v[6:7], null, s2, v116, 0
	v_mul_f32_e32 v111, 0x3f4a47b2, v71
	v_fmamk_f32 v98, v114, 0x3eae86e6, v115
	v_fmamk_f32 v72, v71, 0x3f4a47b2, v78
	;; [unrolled: 1-line block ×4, first 2 shown]
	v_fma_f32 v76, 0x3f3bfb3b, v113, -v76
	v_fma_f32 v85, 0xbf3bfb3b, v73, -v111
	;; [unrolled: 1-line block ×5, first 2 shown]
	v_mad_u64_u32 v[77:78], null, s3, v116, v[7:8]
	v_fmac_f32_e32 v98, 0x3ee1c552, v74
	v_add_f32_e32 v112, v72, v62
	v_add_f32_e32 v103, v103, v75
	v_fmac_f32_e32 v110, 0x3ee1c552, v79
	v_fmac_f32_e32 v99, 0x3ee1c552, v79
	v_add_f32_e32 v111, v76, v75
	v_add_f32_e32 v72, v98, v112
	v_fmac_f32_e32 v84, 0x3ee1c552, v74
	v_sub_f32_e32 v71, v103, v110
	v_add_f32_e32 v85, v85, v62
	v_add_f32_e32 v100, v100, v75
	v_fmac_f32_e32 v101, 0x3ee1c552, v79
	v_add_f32_e32 v75, v99, v111
	v_sub_f32_e32 v78, v111, v99
	v_sub_f32_e32 v99, v112, v98
	v_add_f32_e32 v98, v110, v103
	v_add_nc_u32_e32 v110, 0x157, v116
	v_add_f32_e32 v62, v73, v62
	v_fmac_f32_e32 v102, 0x3ee1c552, v74
	v_mov_b32_e32 v7, v77
	v_add_nc_u32_e32 v77, 0x2ae, v116
	v_add_f32_e32 v74, v84, v85
	v_sub_f32_e32 v73, v100, v101
	v_sub_f32_e32 v85, v85, v84
	v_add_f32_e32 v84, v101, v100
	v_mad_u64_u32 v[100:101], null, s2, v110, 0
	v_sub_f32_e32 v76, v62, v102
	v_add_f32_e32 v79, v102, v62
	v_mad_u64_u32 v[102:103], null, s2, v77, 0
	v_add_co_u32 v114, vcc_lo, s10, v92
	v_mov_b32_e32 v62, v101
	v_add_co_ci_u32_e32 v115, vcc_lo, s11, v93, vcc_lo
	v_lshlrev_b64 v[92:93], 3, v[6:7]
	v_mov_b32_e32 v6, v103
	v_add_nc_u32_e32 v117, 0x405, v116
	v_mad_u64_u32 v[110:111], null, s3, v110, v[62:63]
	v_add_nc_u32_e32 v119, 49, v118
	v_mad_u64_u32 v[111:112], null, s3, v77, v[6:7]
	v_mad_u64_u32 v[112:113], null, s2, v117, 0
	v_add_nc_u32_e32 v77, 0x55c, v116
	v_add_co_u32 v6, vcc_lo, v114, v60
	v_add_co_ci_u32_e32 v7, vcc_lo, v115, v61, vcc_lo
	v_mov_b32_e32 v101, v110
	v_mov_b32_e32 v103, v111
	;; [unrolled: 1-line block ×3, first 2 shown]
	v_mad_u64_u32 v[110:111], null, s2, v77, 0
	v_add_co_u32 v60, vcc_lo, v6, v92
	v_add_co_ci_u32_e32 v61, vcc_lo, v7, v93, vcc_lo
	v_lshlrev_b64 v[92:93], 3, v[100:101]
	v_lshlrev_b64 v[100:101], 3, v[102:103]
	v_mad_u64_u32 v[102:103], null, s3, v117, v[62:63]
	v_add_nc_u32_e32 v117, 0x6b3, v116
	v_mov_b32_e32 v62, v111
	v_add_co_u32 v92, vcc_lo, v6, v92
	v_add_co_ci_u32_e32 v93, vcc_lo, v7, v93, vcc_lo
	v_mad_u64_u32 v[114:115], null, s2, v117, 0
	v_add_co_u32 v100, vcc_lo, v6, v100
	v_mov_b32_e32 v113, v102
	v_mad_u64_u32 v[102:103], null, s3, v77, v[62:63]
	v_mul_hi_u32 v77, 0xbf112a8b, v119
	v_add_co_ci_u32_e32 v101, vcc_lo, v7, v101, vcc_lo
	global_store_dwordx2 v[60:61], v[67:68], off
	global_store_dwordx2 v[92:93], v[98:99], off
	;; [unrolled: 1-line block ×3, first 2 shown]
	v_add_nc_u32_e32 v98, 0x80a, v116
	v_mov_b32_e32 v62, v115
	v_lshlrev_b64 v[60:61], 3, v[112:113]
	v_lshrrev_b32_e32 v77, 8, v77
	v_mov_b32_e32 v111, v102
	v_mad_u64_u32 v[67:68], null, s2, v98, 0
	v_mad_u64_u32 v[84:85], null, s3, v117, v[62:63]
	v_mul_u32_u24_e32 v85, 0x157, v77
	v_lshlrev_b64 v[92:93], 3, v[110:111]
	v_add_co_u32 v60, vcc_lo, v6, v60
	v_mov_b32_e32 v62, v68
	v_sub_nc_u32_e32 v68, v119, v85
	v_mov_b32_e32 v115, v84
	v_add_co_ci_u32_e32 v61, vcc_lo, v7, v61, vcc_lo
	v_mad_u64_u32 v[84:85], null, s3, v98, v[62:63]
	v_mad_u32_u24 v113, 0x961, v77, v68
	v_lshlrev_b64 v[98:99], 3, v[114:115]
	v_add_co_u32 v92, vcc_lo, v6, v92
	v_add_co_ci_u32_e32 v93, vcc_lo, v7, v93, vcc_lo
	v_add_nc_u32_e32 v110, 0x157, v113
	v_mad_u64_u32 v[100:101], null, s2, v113, 0
	v_mov_b32_e32 v68, v84
	v_add_co_u32 v84, vcc_lo, v6, v98
	v_mad_u64_u32 v[102:103], null, s2, v110, 0
	v_add_co_ci_u32_e32 v85, vcc_lo, v7, v99, vcc_lo
	v_mov_b32_e32 v62, v101
	v_add_nc_u32_e32 v114, 0x2ae, v113
	v_lshlrev_b64 v[67:68], 3, v[67:68]
	global_store_dwordx2 v[60:61], v[78:79], off
	global_store_dwordx2 v[92:93], v[75:76], off
	v_mov_b32_e32 v77, v103
	v_mad_u64_u32 v[98:99], null, s3, v113, v[62:63]
	v_add_nc_u32_e32 v93, 0x62, v118
	v_add_co_u32 v67, vcc_lo, v6, v67
	v_mad_u64_u32 v[110:111], null, s3, v110, v[77:78]
	v_mad_u64_u32 v[111:112], null, s2, v114, 0
	v_mov_b32_e32 v101, v98
	v_add_co_ci_u32_e32 v68, vcc_lo, v7, v68, vcc_lo
	v_add_nc_u32_e32 v77, 0x405, v113
	global_store_dwordx2 v[84:85], v[73:74], off
	global_store_dwordx2 v[67:68], v[71:72], off
	v_lshlrev_b64 v[61:62], 3, v[100:101]
	v_mov_b32_e32 v60, v112
	v_mov_b32_e32 v103, v110
	v_mad_u64_u32 v[73:74], null, s2, v77, 0
	v_add_nc_u32_e32 v84, 0x55c, v113
	v_mad_u64_u32 v[67:68], null, s3, v114, v[60:61]
	v_lshlrev_b64 v[71:72], 3, v[102:103]
	v_add_co_u32 v60, vcc_lo, v6, v61
	v_mad_u64_u32 v[75:76], null, s2, v84, 0
	v_add_co_ci_u32_e32 v61, vcc_lo, v7, v62, vcc_lo
	v_mov_b32_e32 v112, v67
	v_add_co_u32 v67, vcc_lo, v6, v71
	v_mov_b32_e32 v62, v74
	v_add_co_ci_u32_e32 v68, vcc_lo, v7, v72, vcc_lo
	v_lshlrev_b64 v[71:72], 3, v[111:112]
	v_add_nc_u32_e32 v92, 0x6b3, v113
	v_mad_u64_u32 v[77:78], null, s3, v77, v[62:63]
	v_mov_b32_e32 v62, v76
	v_mul_hi_u32 v76, 0xbf112a8b, v93
	v_add_co_u32 v71, vcc_lo, v6, v71
	v_mad_u64_u32 v[78:79], null, s2, v92, 0
	v_add_co_ci_u32_e32 v72, vcc_lo, v7, v72, vcc_lo
	global_store_dwordx2 v[60:61], v[4:5], off
	global_store_dwordx2 v[67:68], v[65:66], off
	;; [unrolled: 1-line block ×3, first 2 shown]
	v_lshrrev_b32_e32 v65, 8, v76
	v_mad_u64_u32 v[84:85], null, s3, v84, v[62:63]
	v_mov_b32_e32 v60, v79
	v_add_nc_u32_e32 v71, 0x80a, v113
	v_mul_u32_u24_e32 v66, 0x157, v65
	v_mov_b32_e32 v74, v77
	v_add_f32_e32 v36, v130, v129
	v_mad_u64_u32 v[60:61], null, s3, v92, v[60:61]
	v_sub_nc_u32_e32 v66, v93, v66
	v_mad_u64_u32 v[61:62], null, s2, v71, 0
	v_mov_b32_e32 v76, v84
	v_lshlrev_b64 v[4:5], 3, v[73:74]
	v_mad_u32_u24 v77, 0x961, v65, v66
	v_mov_b32_e32 v79, v60
	v_add_f32_e32 v80, v133, v132
	v_lshlrev_b64 v[65:66], 3, v[75:76]
	v_mov_b32_e32 v60, v62
	v_mad_u64_u32 v[67:68], null, s2, v77, 0
	v_add_nc_u32_e32 v76, 0x157, v77
	v_add_co_u32 v4, vcc_lo, v6, v4
	v_lshlrev_b64 v[69:70], 3, v[78:79]
	v_add_co_ci_u32_e32 v5, vcc_lo, v7, v5, vcc_lo
	v_mad_u64_u32 v[71:72], null, s3, v71, v[60:61]
	v_add_co_u32 v65, vcc_lo, v6, v65
	v_mad_u64_u32 v[72:73], null, s2, v76, 0
	v_add_co_ci_u32_e32 v66, vcc_lo, v7, v66, vcc_lo
	v_mov_b32_e32 v60, v68
	v_add_co_u32 v68, vcc_lo, v6, v69
	v_add_co_ci_u32_e32 v69, vcc_lo, v7, v70, vcc_lo
	global_store_dwordx2 v[4:5], v[63:64], off
	global_store_dwordx2 v[65:66], v[10:11], off
	;; [unrolled: 1-line block ×3, first 2 shown]
	v_mov_b32_e32 v4, v73
	v_mad_u64_u32 v[74:75], null, s3, v77, v[60:61]
	v_add_nc_u32_e32 v66, 0x2ae, v77
	v_mov_b32_e32 v62, v71
	v_mad_u64_u32 v[4:5], null, s3, v76, v[4:5]
	v_add_nc_u32_e32 v69, 0x405, v77
	v_mad_u64_u32 v[10:11], null, s2, v66, 0
	v_mov_b32_e32 v68, v74
	v_lshlrev_b64 v[8:9], 3, v[61:62]
	v_mad_u64_u32 v[62:63], null, s2, v69, 0
	v_mov_b32_e32 v73, v4
	v_lshlrev_b64 v[60:61], 3, v[67:68]
	v_mov_b32_e32 v4, v11
	v_add_co_u32 v8, vcc_lo, v6, v8
	v_lshlrev_b64 v[64:65], 3, v[72:73]
	v_add_co_ci_u32_e32 v9, vcc_lo, v7, v9, vcc_lo
	v_mad_u64_u32 v[4:5], null, s3, v66, v[4:5]
	v_add_co_u32 v60, vcc_lo, v6, v60
	v_add_nc_u32_e32 v70, 0x55c, v77
	v_add_co_ci_u32_e32 v61, vcc_lo, v7, v61, vcc_lo
	v_mov_b32_e32 v5, v63
	v_add_co_u32 v63, vcc_lo, v6, v64
	v_add_co_ci_u32_e32 v64, vcc_lo, v7, v65, vcc_lo
	v_mad_u64_u32 v[65:66], null, s2, v70, 0
	global_store_dwordx2 v[8:9], v[2:3], off
	v_add_nc_u32_e32 v8, 0x93, v118
	v_mov_b32_e32 v11, v4
	v_mad_u64_u32 v[67:68], null, s3, v69, v[5:6]
	global_store_dwordx2 v[60:61], v[82:83], off
	v_mul_hi_u32 v5, 0xbf112a8b, v8
	global_store_dwordx2 v[63:64], v[0:1], off
	v_lshlrev_b64 v[1:2], 3, v[10:11]
	v_mov_b32_e32 v0, v66
	v_add_nc_u32_e32 v60, 0x6b3, v77
	v_mov_b32_e32 v63, v67
	v_add_nc_u32_e32 v67, 0x80a, v77
	v_sub_f32_e32 v96, v132, v133
	v_mad_u64_u32 v[3:4], null, s3, v70, v[0:1]
	v_lshrrev_b32_e32 v61, 8, v5
	v_lshlrev_b64 v[4:5], 3, v[62:63]
	v_add_co_u32 v0, vcc_lo, v6, v1
	v_add_co_ci_u32_e32 v1, vcc_lo, v7, v2, vcc_lo
	v_mul_u32_u24_e32 v9, 0x157, v61
	v_mov_b32_e32 v66, v3
	v_mad_u64_u32 v[2:3], null, s2, v60, 0
	v_add_co_u32 v4, vcc_lo, v6, v4
	v_sub_nc_u32_e32 v62, v8, v9
	v_mad_u64_u32 v[10:11], null, s2, v67, 0
	v_lshlrev_b64 v[8:9], 3, v[65:66]
	v_add_co_ci_u32_e32 v5, vcc_lo, v7, v5, vcc_lo
	v_mad_u32_u24 v68, 0x961, v61, v62
	v_mad_u64_u32 v[60:61], null, s3, v60, v[3:4]
	v_mov_b32_e32 v3, v11
	v_add_co_u32 v8, vcc_lo, v6, v8
	v_mad_u64_u32 v[61:62], null, s2, v68, 0
	v_mad_u64_u32 v[65:66], null, s3, v67, v[3:4]
	v_mov_b32_e32 v3, v60
	v_add_nc_u32_e32 v69, 0x157, v68
	v_add_co_ci_u32_e32 v9, vcc_lo, v7, v9, vcc_lo
	global_store_dwordx2 v[0:1], v[46:47], off
	global_store_dwordx2 v[4:5], v[44:45], off
	;; [unrolled: 1-line block ×3, first 2 shown]
	v_lshlrev_b64 v[1:2], 3, v[2:3]
	v_mad_u64_u32 v[63:64], null, s2, v69, 0
	v_mov_b32_e32 v0, v62
	v_mov_b32_e32 v11, v65
	v_add_nc_u32_e32 v44, 0x2ae, v68
	v_add_nc_u32_e32 v46, 0x405, v68
	v_sub_f32_e32 v90, v129, v130
	v_mad_u64_u32 v[4:5], null, s3, v68, v[0:1]
	v_mov_b32_e32 v3, v64
	v_add_co_u32 v0, vcc_lo, v6, v1
	v_add_co_ci_u32_e32 v1, vcc_lo, v7, v2, vcc_lo
	v_mad_u64_u32 v[42:43], null, s2, v46, 0
	v_mad_u64_u32 v[8:9], null, s3, v69, v[3:4]
	v_mov_b32_e32 v62, v4
	v_lshlrev_b64 v[2:3], 3, v[10:11]
	v_mad_u64_u32 v[4:5], null, s2, v44, 0
	v_mov_b32_e32 v64, v8
	v_lshlrev_b64 v[8:9], 3, v[61:62]
	v_add_co_u32 v2, vcc_lo, v6, v2
	v_add_co_ci_u32_e32 v3, vcc_lo, v7, v3, vcc_lo
	v_lshlrev_b64 v[10:11], 3, v[63:64]
	v_mad_u64_u32 v[44:45], null, s3, v44, v[5:6]
	v_add_co_u32 v8, vcc_lo, v6, v8
	v_add_co_ci_u32_e32 v9, vcc_lo, v7, v9, vcc_lo
	v_mov_b32_e32 v5, v43
	v_add_co_u32 v10, vcc_lo, v6, v10
	v_add_co_ci_u32_e32 v11, vcc_lo, v7, v11, vcc_lo
	v_mad_u64_u32 v[45:46], null, s3, v46, v[5:6]
	v_mov_b32_e32 v5, v44
	global_store_dwordx2 v[0:1], v[40:41], off
	global_store_dwordx2 v[2:3], v[38:39], off
	;; [unrolled: 1-line block ×4, first 2 shown]
	v_add_nc_u32_e32 v10, 0x55c, v68
	v_add_nc_u32_e32 v38, 0x6b3, v68
	;; [unrolled: 1-line block ×3, first 2 shown]
	v_lshlrev_b64 v[0:1], 3, v[4:5]
	v_mov_b32_e32 v43, v45
	v_mad_u64_u32 v[2:3], null, s2, v10, 0
	v_mad_u64_u32 v[4:5], null, s2, v38, 0
	v_mul_hi_u32 v11, 0xbf112a8b, v40
	v_lshlrev_b64 v[8:9], 3, v[42:43]
	v_add_nc_u32_e32 v41, 0x80a, v68
	v_add_co_u32 v0, vcc_lo, v6, v0
	v_add_co_ci_u32_e32 v1, vcc_lo, v7, v1, vcc_lo
	v_mad_u64_u32 v[36:37], null, s2, v41, 0
	v_lshrrev_b32_e32 v42, 8, v11
	v_mad_u64_u32 v[10:11], null, s3, v10, v[3:4]
	v_mov_b32_e32 v3, v5
	v_add_co_u32 v8, vcc_lo, v6, v8
	v_mul_u32_u24_e32 v5, 0x157, v42
	v_add_co_ci_u32_e32 v9, vcc_lo, v7, v9, vcc_lo
	v_mad_u64_u32 v[38:39], null, s3, v38, v[3:4]
	v_mov_b32_e32 v3, v10
	v_sub_nc_u32_e32 v5, v40, v5
	global_store_dwordx2 v[0:1], v[80:81], off
	global_store_dwordx2 v[8:9], v[106:107], off
	v_mov_b32_e32 v0, v37
	v_lshlrev_b64 v[1:2], 3, v[2:3]
	v_mad_u32_u24 v43, 0x961, v42, v5
	v_mov_b32_e32 v5, v38
	v_mad_u64_u32 v[8:9], null, s3, v41, v[0:1]
	v_mad_u64_u32 v[9:10], null, s2, v43, 0
	v_add_co_u32 v0, vcc_lo, v6, v1
	v_add_co_ci_u32_e32 v1, vcc_lo, v7, v2, vcc_lo
	v_add_nc_u32_e32 v41, 0x157, v43
	v_lshlrev_b64 v[2:3], 3, v[4:5]
	v_mov_b32_e32 v4, v10
	v_mov_b32_e32 v37, v8
	v_add_nc_u32_e32 v8, 0x2ae, v43
	v_mad_u64_u32 v[38:39], null, s2, v41, 0
	v_mad_u64_u32 v[4:5], null, s3, v43, v[4:5]
	v_lshlrev_b64 v[10:11], 3, v[36:37]
	v_add_co_u32 v2, vcc_lo, v6, v2
	v_mad_u64_u32 v[36:37], null, s2, v8, 0
	v_add_co_ci_u32_e32 v3, vcc_lo, v7, v3, vcc_lo
	v_mov_b32_e32 v5, v39
	v_add_co_u32 v39, vcc_lo, v6, v10
	v_mov_b32_e32 v10, v4
	v_add_co_ci_u32_e32 v40, vcc_lo, v7, v11, vcc_lo
	v_mad_u64_u32 v[41:42], null, s3, v41, v[5:6]
	global_store_dwordx2 v[0:1], v[104:105], off
	global_store_dwordx2 v[2:3], v[96:97], off
	;; [unrolled: 1-line block ×3, first 2 shown]
	v_lshlrev_b64 v[1:2], 3, v[9:10]
	v_mov_b32_e32 v0, v37
	v_add_nc_u32_e32 v40, 0x405, v43
	v_mov_b32_e32 v39, v41
	v_mad_u64_u32 v[3:4], null, s3, v8, v[0:1]
	v_mad_u64_u32 v[4:5], null, s2, v40, 0
	v_add_nc_u32_e32 v41, 0x55c, v43
	v_add_co_u32 v0, vcc_lo, v6, v1
	v_add_co_ci_u32_e32 v1, vcc_lo, v7, v2, vcc_lo
	v_mad_u64_u32 v[10:11], null, s2, v41, 0
	v_mov_b32_e32 v37, v3
	v_mov_b32_e32 v2, v5
	v_lshlrev_b64 v[8:9], 3, v[38:39]
	global_store_dwordx2 v[0:1], v[56:57], off
	v_lshlrev_b64 v[36:37], 3, v[36:37]
	v_mad_u64_u32 v[2:3], null, s3, v40, v[2:3]
	v_add_nc_u32_e32 v40, 0xf5, v118
	v_mov_b32_e32 v3, v11
	v_add_co_u32 v8, vcc_lo, v6, v8
	v_add_co_ci_u32_e32 v9, vcc_lo, v7, v9, vcc_lo
	v_mul_hi_u32 v11, 0xbf112a8b, v40
	v_add_co_u32 v36, vcc_lo, v6, v36
	v_mad_u64_u32 v[38:39], null, s3, v41, v[3:4]
	v_add_co_ci_u32_e32 v37, vcc_lo, v7, v37, vcc_lo
	global_store_dwordx2 v[8:9], v[88:89], off
	global_store_dwordx2 v[36:37], v[86:87], off
	v_add_nc_u32_e32 v36, 0x6b3, v43
	v_lshrrev_b32_e32 v37, 8, v11
	v_mov_b32_e32 v5, v2
	v_mov_b32_e32 v11, v38
	v_add_nc_u32_e32 v38, 0x80a, v43
	v_mad_u64_u32 v[2:3], null, s2, v36, 0
	v_mul_u32_u24_e32 v8, 0x157, v37
	v_lshlrev_b64 v[0:1], 3, v[4:5]
	v_lshlrev_b64 v[4:5], 3, v[10:11]
	v_sub_nc_u32_e32 v39, v40, v8
	v_mad_u64_u32 v[8:9], null, s2, v38, 0
	v_mad_u64_u32 v[10:11], null, s3, v36, v[3:4]
	v_add_co_u32 v0, vcc_lo, v6, v0
	v_mad_u32_u24 v39, 0x961, v37, v39
	v_add_co_ci_u32_e32 v1, vcc_lo, v7, v1, vcc_lo
	v_add_co_u32 v4, vcc_lo, v6, v4
	v_add_co_ci_u32_e32 v5, vcc_lo, v7, v5, vcc_lo
	v_mad_u64_u32 v[36:37], null, s2, v39, 0
	v_mov_b32_e32 v3, v10
	v_mad_u64_u32 v[9:10], null, s3, v38, v[9:10]
	v_add_nc_u32_e32 v38, 0x157, v39
	global_store_dwordx2 v[0:1], v[94:95], off
	global_store_dwordx2 v[4:5], v[58:59], off
	v_lshlrev_b64 v[0:1], 3, v[2:3]
	v_mov_b32_e32 v2, v37
	v_mad_u64_u32 v[3:4], null, s2, v38, 0
	v_add_nc_u32_e32 v41, 0x6b3, v39
	v_add_co_u32 v0, vcc_lo, v6, v0
	v_add_co_ci_u32_e32 v1, vcc_lo, v7, v1, vcc_lo
	v_mad_u64_u32 v[10:11], null, s3, v39, v[2:3]
	v_mov_b32_e32 v2, v4
	v_lshlrev_b64 v[4:5], 3, v[8:9]
	v_add_nc_u32_e32 v11, 0x2ae, v39
	global_store_dwordx2 v[0:1], v[54:55], off
	v_mad_u64_u32 v[8:9], null, s3, v38, v[2:3]
	v_mov_b32_e32 v37, v10
	v_add_nc_u32_e32 v38, 0x405, v39
	v_add_co_u32 v4, vcc_lo, v6, v4
	v_add_co_ci_u32_e32 v5, vcc_lo, v7, v5, vcc_lo
	v_lshlrev_b64 v[0:1], 3, v[36:37]
	v_mad_u64_u32 v[36:37], null, s2, v38, 0
	v_mad_u64_u32 v[9:10], null, s2, v11, 0
	global_store_dwordx2 v[4:5], v[52:53], off
	v_mov_b32_e32 v4, v8
	v_add_co_u32 v0, vcc_lo, v6, v0
	v_mov_b32_e32 v5, v37
	v_add_co_ci_u32_e32 v1, vcc_lo, v7, v1, vcc_lo
	v_lshlrev_b64 v[3:4], 3, v[3:4]
	v_mov_b32_e32 v2, v10
	v_mad_u64_u32 v[37:38], null, s3, v38, v[5:6]
	v_add_nc_u32_e32 v38, 0x126, v118
	global_store_dwordx2 v[0:1], v[30:31], off
	v_mad_u64_u32 v[10:11], null, s3, v11, v[2:3]
	v_add_co_u32 v2, vcc_lo, v6, v3
	v_add_co_ci_u32_e32 v3, vcc_lo, v7, v4, vcc_lo
	v_mul_hi_u32 v4, 0xbf112a8b, v38
	v_add_nc_u32_e32 v11, 0x55c, v39
	v_lshlrev_b64 v[0:1], 3, v[9:10]
	global_store_dwordx2 v[2:3], v[50:51], off
	v_mad_u64_u32 v[8:9], null, s2, v41, 0
	v_mad_u64_u32 v[2:3], null, s2, v11, 0
	v_lshrrev_b32_e32 v40, 8, v4
	v_lshlrev_b64 v[4:5], 3, v[36:37]
	v_add_co_u32 v0, vcc_lo, v6, v0
	v_add_nc_u32_e32 v39, 0x80a, v39
	v_mul_u32_u24_e32 v30, 0x157, v40
	v_add_co_ci_u32_e32 v1, vcc_lo, v7, v1, vcc_lo
	v_mad_u64_u32 v[10:11], null, s3, v11, v[3:4]
	v_sub_nc_u32_e32 v11, v38, v30
	v_add_co_u32 v4, vcc_lo, v6, v4
	v_mov_b32_e32 v3, v9
	v_mad_u64_u32 v[30:31], null, s2, v39, 0
	v_mad_u32_u24 v38, 0x961, v40, v11
	global_store_dwordx2 v[0:1], v[48:49], off
	v_mad_u64_u32 v[36:37], null, s3, v41, v[3:4]
	v_mov_b32_e32 v3, v10
	v_mad_u64_u32 v[10:11], null, s2, v38, 0
	v_add_co_ci_u32_e32 v5, vcc_lo, v7, v5, vcc_lo
	v_lshlrev_b64 v[1:2], 3, v[2:3]
	v_mov_b32_e32 v0, v31
	v_mov_b32_e32 v9, v36
	global_store_dwordx2 v[4:5], v[34:35], off
	v_add_nc_u32_e32 v36, 0x157, v38
	v_mad_u64_u32 v[3:4], null, s3, v39, v[0:1]
	v_mov_b32_e32 v0, v11
	v_add_co_u32 v1, vcc_lo, v6, v1
	v_lshlrev_b64 v[4:5], 3, v[8:9]
	v_mad_u64_u32 v[34:35], null, s2, v36, 0
	v_mad_u64_u32 v[8:9], null, s3, v38, v[0:1]
	v_add_co_ci_u32_e32 v2, vcc_lo, v7, v2, vcc_lo
	v_mov_b32_e32 v31, v3
	v_add_co_u32 v3, vcc_lo, v6, v4
	v_add_co_ci_u32_e32 v4, vcc_lo, v7, v5, vcc_lo
	v_mov_b32_e32 v11, v8
	global_store_dwordx2 v[1:2], v[32:33], off
	v_lshlrev_b64 v[1:2], 3, v[30:31]
	v_mov_b32_e32 v0, v35
	global_store_dwordx2 v[3:4], v[28:29], off
	v_lshlrev_b64 v[3:4], 3, v[10:11]
	v_add_nc_u32_e32 v10, 0x2ae, v38
	v_add_nc_u32_e32 v28, 0x55c, v38
	v_mad_u64_u32 v[8:9], null, s3, v36, v[0:1]
	v_add_co_u32 v0, vcc_lo, v6, v1
	v_add_co_ci_u32_e32 v1, vcc_lo, v7, v2, vcc_lo
	v_add_co_u32 v2, vcc_lo, v6, v3
	v_add_co_ci_u32_e32 v3, vcc_lo, v7, v4, vcc_lo
	global_store_dwordx2 v[0:1], v[26:27], off
	v_add_nc_u32_e32 v26, 0x405, v38
	v_mov_b32_e32 v35, v8
	v_mad_u64_u32 v[4:5], null, s2, v10, 0
	global_store_dwordx2 v[2:3], v[20:21], off
	v_mad_u64_u32 v[2:3], null, s2, v26, 0
	v_lshlrev_b64 v[0:1], 3, v[34:35]
	v_mad_u64_u32 v[8:9], null, s2, v28, 0
	v_add_nc_u32_e32 v30, 0x6b3, v38
	v_mad_u64_u32 v[10:11], null, s3, v10, v[5:6]
	v_mad_u64_u32 v[20:21], null, s3, v26, v[3:4]
	v_mad_u64_u32 v[26:27], null, s2, v30, 0
	v_add_co_u32 v0, vcc_lo, v6, v0
	v_add_nc_u32_e32 v21, 0x80a, v38
	v_add_co_ci_u32_e32 v1, vcc_lo, v7, v1, vcc_lo
	v_mov_b32_e32 v3, v9
	v_mov_b32_e32 v5, v10
	v_mad_u64_u32 v[10:11], null, s2, v21, 0
	global_store_dwordx2 v[0:1], v[24:25], off
	v_mad_u64_u32 v[28:29], null, s3, v28, v[3:4]
	v_mov_b32_e32 v0, v27
	v_mov_b32_e32 v3, v20
	v_lshlrev_b64 v[4:5], 3, v[4:5]
	v_mad_u64_u32 v[0:1], null, s3, v30, v[0:1]
	v_lshlrev_b64 v[2:3], 3, v[2:3]
	v_mov_b32_e32 v1, v11
	v_mov_b32_e32 v9, v28
	v_add_co_u32 v4, vcc_lo, v6, v4
	v_add_co_ci_u32_e32 v5, vcc_lo, v7, v5, vcc_lo
	v_mad_u64_u32 v[20:21], null, s3, v21, v[1:2]
	v_mov_b32_e32 v27, v0
	v_lshlrev_b64 v[8:9], 3, v[8:9]
	v_add_co_u32 v0, vcc_lo, v6, v2
	v_add_co_ci_u32_e32 v1, vcc_lo, v7, v3, vcc_lo
	v_mov_b32_e32 v11, v20
	v_lshlrev_b64 v[2:3], 3, v[26:27]
	v_add_co_u32 v8, vcc_lo, v6, v8
	v_add_co_ci_u32_e32 v9, vcc_lo, v7, v9, vcc_lo
	v_lshlrev_b64 v[10:11], 3, v[10:11]
	v_add_co_u32 v2, vcc_lo, v6, v2
	v_add_co_ci_u32_e32 v3, vcc_lo, v7, v3, vcc_lo
	v_add_co_u32 v6, vcc_lo, v6, v10
	v_add_co_ci_u32_e32 v7, vcc_lo, v7, v11, vcc_lo
	global_store_dwordx2 v[4:5], v[22:23], off
	global_store_dwordx2 v[0:1], v[18:19], off
	;; [unrolled: 1-line block ×5, first 2 shown]
.LBB0_15:
	s_endpgm
	.section	.rodata,"a",@progbits
	.p2align	6, 0x0
	.amdhsa_kernel fft_rtc_fwd_len2401_factors_7_7_7_7_wgs_49_tpt_49_halfLds_sp_op_CI_CI_sbrr_dirReg
		.amdhsa_group_segment_fixed_size 0
		.amdhsa_private_segment_fixed_size 0
		.amdhsa_kernarg_size 104
		.amdhsa_user_sgpr_count 6
		.amdhsa_user_sgpr_private_segment_buffer 1
		.amdhsa_user_sgpr_dispatch_ptr 0
		.amdhsa_user_sgpr_queue_ptr 0
		.amdhsa_user_sgpr_kernarg_segment_ptr 1
		.amdhsa_user_sgpr_dispatch_id 0
		.amdhsa_user_sgpr_flat_scratch_init 0
		.amdhsa_user_sgpr_private_segment_size 0
		.amdhsa_wavefront_size32 1
		.amdhsa_uses_dynamic_stack 0
		.amdhsa_system_sgpr_private_segment_wavefront_offset 0
		.amdhsa_system_sgpr_workgroup_id_x 1
		.amdhsa_system_sgpr_workgroup_id_y 0
		.amdhsa_system_sgpr_workgroup_id_z 0
		.amdhsa_system_sgpr_workgroup_info 0
		.amdhsa_system_vgpr_workitem_id 0
		.amdhsa_next_free_vgpr 215
		.amdhsa_next_free_sgpr 31
		.amdhsa_reserve_vcc 1
		.amdhsa_reserve_flat_scratch 0
		.amdhsa_float_round_mode_32 0
		.amdhsa_float_round_mode_16_64 0
		.amdhsa_float_denorm_mode_32 3
		.amdhsa_float_denorm_mode_16_64 3
		.amdhsa_dx10_clamp 1
		.amdhsa_ieee_mode 1
		.amdhsa_fp16_overflow 0
		.amdhsa_workgroup_processor_mode 1
		.amdhsa_memory_ordered 1
		.amdhsa_forward_progress 0
		.amdhsa_shared_vgpr_count 0
		.amdhsa_exception_fp_ieee_invalid_op 0
		.amdhsa_exception_fp_denorm_src 0
		.amdhsa_exception_fp_ieee_div_zero 0
		.amdhsa_exception_fp_ieee_overflow 0
		.amdhsa_exception_fp_ieee_underflow 0
		.amdhsa_exception_fp_ieee_inexact 0
		.amdhsa_exception_int_div_zero 0
	.end_amdhsa_kernel
	.text
.Lfunc_end0:
	.size	fft_rtc_fwd_len2401_factors_7_7_7_7_wgs_49_tpt_49_halfLds_sp_op_CI_CI_sbrr_dirReg, .Lfunc_end0-fft_rtc_fwd_len2401_factors_7_7_7_7_wgs_49_tpt_49_halfLds_sp_op_CI_CI_sbrr_dirReg
                                        ; -- End function
	.section	.AMDGPU.csdata,"",@progbits
; Kernel info:
; codeLenInByte = 29144
; NumSgprs: 33
; NumVgprs: 215
; ScratchSize: 0
; MemoryBound: 0
; FloatMode: 240
; IeeeMode: 1
; LDSByteSize: 0 bytes/workgroup (compile time only)
; SGPRBlocks: 4
; VGPRBlocks: 26
; NumSGPRsForWavesPerEU: 33
; NumVGPRsForWavesPerEU: 215
; Occupancy: 4
; WaveLimiterHint : 1
; COMPUTE_PGM_RSRC2:SCRATCH_EN: 0
; COMPUTE_PGM_RSRC2:USER_SGPR: 6
; COMPUTE_PGM_RSRC2:TRAP_HANDLER: 0
; COMPUTE_PGM_RSRC2:TGID_X_EN: 1
; COMPUTE_PGM_RSRC2:TGID_Y_EN: 0
; COMPUTE_PGM_RSRC2:TGID_Z_EN: 0
; COMPUTE_PGM_RSRC2:TIDIG_COMP_CNT: 0
	.text
	.p2alignl 6, 3214868480
	.fill 48, 4, 3214868480
	.type	__hip_cuid_65264d93d10e5963,@object ; @__hip_cuid_65264d93d10e5963
	.section	.bss,"aw",@nobits
	.globl	__hip_cuid_65264d93d10e5963
__hip_cuid_65264d93d10e5963:
	.byte	0                               ; 0x0
	.size	__hip_cuid_65264d93d10e5963, 1

	.ident	"AMD clang version 19.0.0git (https://github.com/RadeonOpenCompute/llvm-project roc-6.4.0 25133 c7fe45cf4b819c5991fe208aaa96edf142730f1d)"
	.section	".note.GNU-stack","",@progbits
	.addrsig
	.addrsig_sym __hip_cuid_65264d93d10e5963
	.amdgpu_metadata
---
amdhsa.kernels:
  - .args:
      - .actual_access:  read_only
        .address_space:  global
        .offset:         0
        .size:           8
        .value_kind:     global_buffer
      - .offset:         8
        .size:           8
        .value_kind:     by_value
      - .actual_access:  read_only
        .address_space:  global
        .offset:         16
        .size:           8
        .value_kind:     global_buffer
      - .actual_access:  read_only
        .address_space:  global
        .offset:         24
        .size:           8
        .value_kind:     global_buffer
      - .actual_access:  read_only
        .address_space:  global
        .offset:         32
        .size:           8
        .value_kind:     global_buffer
      - .offset:         40
        .size:           8
        .value_kind:     by_value
      - .actual_access:  read_only
        .address_space:  global
        .offset:         48
        .size:           8
        .value_kind:     global_buffer
      - .actual_access:  read_only
        .address_space:  global
        .offset:         56
        .size:           8
        .value_kind:     global_buffer
      - .offset:         64
        .size:           4
        .value_kind:     by_value
      - .actual_access:  read_only
        .address_space:  global
        .offset:         72
        .size:           8
        .value_kind:     global_buffer
      - .actual_access:  read_only
        .address_space:  global
        .offset:         80
        .size:           8
        .value_kind:     global_buffer
      - .actual_access:  read_only
        .address_space:  global
        .offset:         88
        .size:           8
        .value_kind:     global_buffer
      - .actual_access:  write_only
        .address_space:  global
        .offset:         96
        .size:           8
        .value_kind:     global_buffer
    .group_segment_fixed_size: 0
    .kernarg_segment_align: 8
    .kernarg_segment_size: 104
    .language:       OpenCL C
    .language_version:
      - 2
      - 0
    .max_flat_workgroup_size: 49
    .name:           fft_rtc_fwd_len2401_factors_7_7_7_7_wgs_49_tpt_49_halfLds_sp_op_CI_CI_sbrr_dirReg
    .private_segment_fixed_size: 0
    .sgpr_count:     33
    .sgpr_spill_count: 0
    .symbol:         fft_rtc_fwd_len2401_factors_7_7_7_7_wgs_49_tpt_49_halfLds_sp_op_CI_CI_sbrr_dirReg.kd
    .uniform_work_group_size: 1
    .uses_dynamic_stack: false
    .vgpr_count:     215
    .vgpr_spill_count: 0
    .wavefront_size: 32
    .workgroup_processor_mode: 1
amdhsa.target:   amdgcn-amd-amdhsa--gfx1030
amdhsa.version:
  - 1
  - 2
...

	.end_amdgpu_metadata
